;; amdgpu-corpus repo=ROCm/rccl kind=compiled arch=gfx1030 opt=O3
	.amdgcn_target "amdgcn-amd-amdhsa--gfx1030"
	.amdhsa_code_object_version 6
	.text
	.p2align	2                               ; -- Begin function _ZN12_GLOBAL__N_17runRingIa7FuncSumIaE7ProtoLLLi0ELi1ELi0EEEviiP15ncclDevWorkColl
	.type	_ZN12_GLOBAL__N_17runRingIa7FuncSumIaE7ProtoLLLi0ELi1ELi0EEEviiP15ncclDevWorkColl,@function
_ZN12_GLOBAL__N_17runRingIa7FuncSumIaE7ProtoLLLi0ELi1ELi0EEEviiP15ncclDevWorkColl: ; @_ZN12_GLOBAL__N_17runRingIa7FuncSumIaE7ProtoLLLi0ELi1ELi0EEEviiP15ncclDevWorkColl
; %bb.0:
	s_waitcnt vmcnt(0) expcnt(0) lgkmcnt(0)
	s_trap 2
	ds_read_b64 v[4:5], v0
	s_clause 0x1
	flat_load_dwordx2 v[16:17], v[2:3]
	flat_load_ushort v9, v[2:3] offset:8
	ds_read_b32 v6, v0
                                        ; implicit-def: $vgpr38_vgpr39
                                        ; implicit-def: $vgpr14_vgpr15
	s_waitcnt lgkmcnt(3)
	flat_load_dwordx2 v[48:49], v[4:5]
                                        ; implicit-def: $vgpr4_vgpr5
	s_waitcnt vmcnt(2) lgkmcnt(3)
	v_mov_b32_e32 v8, v17
	s_waitcnt lgkmcnt(1)
	v_cmp_ne_u32_sdwa s4, v6, v16 src0_sel:DWORD src1_sel:BYTE_0
	s_and_saveexec_b32 s5, s4
	s_xor_b32 s4, exec_lo, s5
	s_cbranch_execz .LBB0_6
; %bb.1:
	v_not_b32_sdwa v10, v16 dst_sel:DWORD dst_unused:UNUSED_PAD src0_sel:BYTE_0
	v_cmp_ne_u32_sdwa s5, v6, v16 src0_sel:DWORD src1_sel:BYTE_1
                                        ; implicit-def: $vgpr38_vgpr39
                                        ; implicit-def: $vgpr4_vgpr5
                                        ; implicit-def: $vgpr14_vgpr15
	s_and_saveexec_b32 s6, s5
	s_xor_b32 s5, exec_lo, s6
	s_cbranch_execz .LBB0_3
; %bb.2:
	s_clause 0x1
	flat_load_dwordx4 v[17:20], v[2:3] offset:72
	flat_load_dwordx2 v[4:5], v[2:3] offset:96
	v_add_nc_u32_e32 v6, v6, v10
                                        ; implicit-def: $vgpr10
	v_ashrrev_i32_e32 v7, 31, v6
	s_waitcnt vmcnt(1) lgkmcnt(1)
	v_mul_lo_u32 v7, v19, v7
	v_mad_u64_u32 v[14:15], null, v19, v6, v[17:18]
	v_mul_lo_u32 v6, v20, v6
	s_waitcnt vmcnt(0) lgkmcnt(0)
	v_lshrrev_b64 v[38:39], 21, v[4:5]
	v_mov_b32_e32 v4, v19
	v_mov_b32_e32 v5, v20
	v_add3_u32 v15, v6, v15, v7
.LBB0_3:
	s_andn2_saveexec_b32 s5, s5
	s_cbranch_execz .LBB0_5
; %bb.4:
	s_clause 0x1
	flat_load_dwordx4 v[17:20], v[2:3] offset:72
	flat_load_dwordx4 v[4:7], v[2:3] offset:88
	s_waitcnt vmcnt(0) lgkmcnt(0)
	v_add_nc_u32_sdwa v6, v16, v10 dst_sel:DWORD dst_unused:UNUSED_PAD src0_sel:BYTE_1 src1_sel:DWORD
	v_ashrrev_i32_e32 v10, 31, v6
	v_mul_lo_u32 v10, v19, v10
	v_mad_u64_u32 v[14:15], null, v19, v6, v[17:18]
	v_mul_lo_u32 v6, v20, v6
	v_lshrrev_b32_e32 v38, 10, v7
	v_add3_u32 v15, v6, v15, v10
.LBB0_5:
	s_or_b32 exec_lo, exec_lo, s5
.LBB0_6:
	s_andn2_saveexec_b32 s4, s4
	s_cbranch_execz .LBB0_8
; %bb.7:
	s_clause 0x1
	flat_load_dwordx2 v[4:5], v[2:3] offset:72
	flat_load_dwordx2 v[38:39], v[2:3] offset:96
	v_mov_b32_e32 v14, 0
	v_mov_b32_e32 v15, 0
.LBB0_8:
	s_or_b32 exec_lo, exec_lo, s4
	flat_load_dwordx4 v[10:13], v[2:3] offset:16
	v_and_b32_e32 v2, 0x44000000, v16
	v_bfe_u32 v3, v8, 1, 30
	s_mov_b32 s4, exec_lo
	v_cmp_eq_u32_e64 s13, 0x44000000, v2
	v_cndmask_b32_e64 v2, v1, 32, s13
	v_cmpx_ge_i32_e64 v0, v2
	s_xor_b32 s5, exec_lo, s4
	s_cbranch_execnz .LBB0_11
; %bb.9:
	s_andn2_saveexec_b32 s15, s5
	s_cbranch_execnz .LBB0_40
.LBB0_10:
	s_or_b32 exec_lo, exec_lo, s15
	s_waitcnt vmcnt(0) lgkmcnt(0)
	s_setpc_b64 s[30:31]
.LBB0_11:
	s_waitcnt vmcnt(0) lgkmcnt(0)
	v_cmp_ne_u64_e32 vcc_lo, v[12:13], v[10:11]
	v_cmp_eq_u32_e64 s4, v48, v3
	s_and_b32 s4, vcc_lo, s4
	s_and_saveexec_b32 s6, s4
	s_cbranch_execz .LBB0_39
; %bb.12:
	v_sub_nc_u32_e32 v16, v0, v2
	s_mov_b32 s7, 0
	s_mov_b32 s4, exec_lo
	v_ashrrev_i16 v0, 15, v16
	v_lshrrev_b16 v0, 11, v0
	v_add_nc_u16 v0, v16, v0
	v_and_b32_e32 v3, 0xffffffe0, v0
	v_sub_nc_u16 v17, v16, v3
	v_cmpx_gt_i16_e32 1, v17
; %bb.13:
	v_add_nc_u32_e32 v3, v12, v14
	v_add_nc_u32_e32 v6, v10, v14
	v_or_b32_e32 v3, v3, v6
	v_and_b32_e32 v3, 15, v3
	v_cmp_ne_u32_e32 vcc_lo, 0, v3
	s_and_b32 s7, vcc_lo, exec_lo
; %bb.14:
	s_or_b32 exec_lo, exec_lo, s4
	v_cndmask_b32_e64 v3, 0, 1, s7
	v_sub_nc_u32_e32 v9, v1, v2
	v_cmp_ne_u32_e32 vcc_lo, 0, v3
	s_cbranch_vccz .LBB0_16
; %bb.15:
	v_mov_b32_e32 v0, 0
	v_mov_b32_e32 v1, 0
	s_mov_b32 s4, -1
	s_and_b32 exec_lo, exec_lo, s4
	s_cbranch_execnz .LBB0_31
	s_branch .LBB0_39
.LBB0_16:
	v_ashrrev_i32_e32 v1, 31, v5
	v_ashrrev_i16 v2, 5, v0
	s_mov_b32 s10, 0
	s_mov_b32 s7, exec_lo
	v_lshrrev_b32_e32 v1, 22, v1
	v_bfe_i32 v2, v2, 0, 16
	v_add_co_u32 v0, vcc_lo, v4, v1
	v_add_co_ci_u32_e64 v1, null, 0, v5, vcc_lo
	v_ashrrev_i32_e32 v3, 31, v2
	v_ashrrev_i64 v[0:1], 10, v[0:1]
	v_sub_co_u32 v6, vcc_lo, v0, v2
	v_sub_co_ci_u32_e64 v7, null, v1, v3, vcc_lo
	v_cmpx_lt_i64_e32 0, v[6:7]
	s_cbranch_execz .LBB0_20
; %bb.17:
	v_ashrrev_i16 v3, 15, v9
	v_mov_b32_e32 v8, 4
	v_mov_b32_e32 v16, 10
	v_lshrrev_b16 v3, 11, v3
	v_lshlrev_b32_sdwa v8, v8, sext(v17) dst_sel:DWORD dst_unused:UNUSED_PAD src0_sel:DWORD src1_sel:WORD_0
	v_add_nc_u16 v3, v9, v3
	v_lshl_add_u32 v18, v2, 10, v8
	v_ashrrev_i16 v3, 5, v3
	v_ashrrev_i32_e32 v19, 31, v18
	v_add_co_u32 v18, vcc_lo, v14, v18
	v_bfe_i32 v2, v3, 0, 16
	v_lshlrev_b32_sdwa v3, v16, sext(v3) dst_sel:DWORD dst_unused:UNUSED_PAD src0_sel:DWORD src1_sel:WORD_0
	v_add_co_ci_u32_e64 v19, null, v15, v19, vcc_lo
	v_ashrrev_i32_e32 v8, 31, v2
	v_ashrrev_i32_e32 v16, 31, v3
	.p2align	6
.LBB0_18:                               ; =>This Inner Loop Header: Depth=1
	v_add_co_u32 v24, vcc_lo, v12, v18
	v_add_co_ci_u32_e64 v25, null, v13, v19, vcc_lo
	v_sub_co_u32 v6, vcc_lo, v6, v2
	v_sub_co_ci_u32_e64 v7, null, v7, v8, vcc_lo
	s_clause 0x1
	global_load_dwordx4 v[20:23], v[24:25], off slc
	global_load_dwordx4 v[24:27], v[24:25], off offset:512 slc
	v_add_co_u32 v28, vcc_lo, v10, v18
	v_add_co_ci_u32_e64 v29, null, v11, v19, vcc_lo
	v_cmp_gt_i64_e32 vcc_lo, 1, v[6:7]
	v_add_co_u32 v18, s4, v18, v3
	v_add_co_ci_u32_e64 v19, null, v19, v16, s4
	s_waitcnt vmcnt(1)
	global_store_dwordx4 v[28:29], v[20:23], off glc slc
	s_waitcnt vmcnt(0)
	global_store_dwordx4 v[28:29], v[24:27], off offset:512 glc slc
	s_or_b32 s10, vcc_lo, s10
	s_andn2_b32 exec_lo, exec_lo, s10
	s_cbranch_execnz .LBB0_18
; %bb.19:
	s_or_b32 exec_lo, exec_lo, s10
.LBB0_20:
	s_or_b32 exec_lo, exec_lo, s7
	v_lshlrev_b64 v[7:8], 10, v[0:1]
	v_mov_b32_e32 v0, 0
	v_mov_b32_e32 v1, 0
	s_mov_b32 s4, 0
	s_mov_b32 s7, exec_lo
                                        ; implicit-def: $vgpr2_vgpr3
                                        ; implicit-def: $vgpr16
	v_cmpx_ne_u64_e64 v[4:5], v[7:8]
	s_cbranch_execz .LBB0_30
; %bb.21:
	v_sub_co_u32 v16, vcc_lo, v4, v7
	v_sub_co_ci_u32_e64 v20, null, v5, v8, vcc_lo
	v_mov_b32_e32 v5, 0
	v_ashrrev_i32_e32 v0, 31, v20
	v_lshrrev_b32_e32 v0, 23, v0
	v_add_co_u32 v0, vcc_lo, v16, v0
	v_add_co_ci_u32_e64 v1, null, 0, v20, vcc_lo
	v_and_b32_e32 v21, 0xfffffe00, v0
	v_ashrrev_i64 v[18:19], 9, v[0:1]
	v_sub_co_u32 v2, vcc_lo, v16, v21
	v_add_co_u32 v0, s4, v21, v7
	v_sub_co_ci_u32_e64 v3, null, v20, v1, vcc_lo
	v_add_co_ci_u32_e64 v1, null, v1, v8, s4
	s_mov_b32 s4, exec_lo
	v_cmpx_lt_i64_e32 15, v[2:3]
	s_cbranch_execz .LBB0_23
; %bb.22:
	v_and_b32_e32 v4, 15, v4
	v_sub_co_u32 v2, vcc_lo, v2, v4
	v_subrev_co_ci_u32_e64 v3, null, 0, v3, vcc_lo
	v_add_co_u32 v18, vcc_lo, v18, 1
	v_add_co_ci_u32_e64 v19, null, 0, v19, vcc_lo
	v_add_co_u32 v0, vcc_lo, v2, v0
	v_add_co_ci_u32_e64 v1, null, v3, v1, vcc_lo
	v_mov_b32_e32 v2, v4
	v_mov_b32_e32 v3, v5
.LBB0_23:
	s_or_b32 exec_lo, exec_lo, s4
	v_lshlrev_b32_e32 v4, 5, v6
	s_mov_b32 s10, exec_lo
	v_sub_nc_u32_sdwa v4, sext(v17), v4 dst_sel:DWORD dst_unused:UNUSED_PAD src0_sel:WORD_0 src1_sel:DWORD
	v_ashrrev_i32_e32 v5, 31, v4
	v_lshrrev_b32_e32 v5, 27, v5
	v_add_nc_u32_e32 v5, v4, v5
	v_and_b32_e32 v6, 0xffffffe0, v5
	v_sub_nc_u32_e32 v6, v4, v6
	v_ashrrev_i32_e32 v4, 5, v5
	v_lshlrev_b32_e32 v5, 4, v6
	v_lshl_add_u32 v21, v4, 9, v5
	v_ashrrev_i32_e32 v5, 31, v4
	v_sub_co_u32 v4, s4, v18, v4
	v_ashrrev_i32_e32 v22, 31, v21
	v_sub_co_u32 v16, vcc_lo, v16, v21
	v_sub_co_ci_u32_e64 v5, null, v19, v5, s4
	v_sub_co_ci_u32_e64 v17, null, v20, v22, vcc_lo
	v_cmpx_lt_i64_e32 15, v[16:17]
	s_cbranch_execz .LBB0_27
; %bb.24:
	v_ashrrev_i16 v18, 15, v9
	v_mov_b32_e32 v20, 9
	s_mov_b32 s11, 0
	v_lshrrev_b16 v18, 11, v18
	v_add_nc_u16 v18, v9, v18
	v_ashrrev_i16 v19, 5, v18
	v_bfe_i32 v18, v19, 0, 16
	v_lshlrev_b32_sdwa v19, v20, sext(v19) dst_sel:DWORD dst_unused:UNUSED_PAD src0_sel:DWORD src1_sel:WORD_0
	v_add_co_u32 v20, vcc_lo, v14, v7
	v_add_co_ci_u32_e64 v23, null, v15, v8, vcc_lo
	v_ashrrev_i32_e32 v7, 31, v19
	v_add_co_u32 v20, vcc_lo, v20, v21
	v_ashrrev_i32_e32 v8, 31, v18
	v_add_co_ci_u32_e64 v21, null, v23, v22, vcc_lo
	.p2align	6
.LBB0_25:                               ; =>This Inner Loop Header: Depth=1
	v_add_co_u32 v22, vcc_lo, v12, v20
	v_add_co_ci_u32_e64 v23, null, v13, v21, vcc_lo
	v_add_co_u32 v26, vcc_lo, v10, v20
	v_add_co_ci_u32_e64 v27, null, v11, v21, vcc_lo
	global_load_dwordx4 v[22:25], v[22:23], off slc
	v_sub_co_u32 v16, vcc_lo, v16, v19
	v_sub_co_ci_u32_e64 v17, null, v17, v7, vcc_lo
	v_sub_co_u32 v4, vcc_lo, v4, v18
	v_sub_co_ci_u32_e64 v5, null, v5, v8, vcc_lo
	v_cmp_gt_i64_e32 vcc_lo, 16, v[16:17]
	v_add_co_u32 v20, s4, v20, v19
	v_add_co_ci_u32_e64 v21, null, v21, v7, s4
	s_or_b32 s11, vcc_lo, s11
	s_waitcnt vmcnt(0)
	global_store_dwordx4 v[26:27], v[22:25], off glc slc
	s_andn2_b32 exec_lo, exec_lo, s11
	s_cbranch_execnz .LBB0_25
; %bb.26:
	s_or_b32 exec_lo, exec_lo, s11
.LBB0_27:
	s_or_b32 exec_lo, exec_lo, s10
	s_mov_b32 s4, exec_lo
	v_cmpx_lt_i64_e32 0, v[4:5]
	s_cbranch_execz .LBB0_29
; %bb.28:
	v_ashrrev_i16 v7, 15, v9
	v_lshrrev_b16 v7, 11, v7
	v_add_nc_u16 v7, v9, v7
	v_ashrrev_i16 v7, 5, v7
	v_bfe_i32 v7, v7, 0, 16
	v_ashrrev_i32_e32 v8, 31, v7
	v_sub_co_u32 v4, vcc_lo, v4, v7
	v_sub_co_ci_u32_e64 v5, null, v5, v8, vcc_lo
.LBB0_29:
	s_or_b32 exec_lo, exec_lo, s4
	v_lshlrev_b32_e32 v4, 5, v4
	v_cmp_ne_u64_e32 vcc_lo, 0, v[2:3]
	v_sub_nc_u32_e32 v16, v6, v4
	s_and_b32 s4, vcc_lo, exec_lo
.LBB0_30:
	s_or_b32 exec_lo, exec_lo, s7
	v_mov_b32_e32 v5, v3
	v_mov_b32_e32 v4, v2
	s_and_b32 exec_lo, exec_lo, s4
	s_cbranch_execz .LBB0_39
.LBB0_31:
	v_ashrrev_i32_e32 v2, 31, v16
	v_ashrrev_i32_e32 v3, 31, v5
	s_mov_b32 s4, exec_lo
	v_lshrrev_b32_e32 v2, 27, v2
	v_lshrrev_b32_e32 v3, 24, v3
	v_add_nc_u32_e32 v17, v16, v2
	v_add_co_u32 v2, vcc_lo, v4, v3
	v_add_co_ci_u32_e64 v3, null, 0, v5, vcc_lo
	v_ashrrev_i32_e32 v8, 5, v17
	v_ashrrev_i64 v[6:7], 8, v[2:3]
	v_ashrrev_i32_e32 v3, 31, v8
	v_sub_co_u32 v2, vcc_lo, v6, v8
	v_sub_co_ci_u32_e64 v3, null, v7, v3, vcc_lo
	v_cmpx_lt_i64_e32 0, v[2:3]
	s_cbranch_execz .LBB0_35
; %bb.32:
	v_ashrrev_i16 v18, 15, v9
	v_and_b32_e32 v17, 0xffffffe0, v17
	v_mov_b32_e32 v19, 8
	v_add_co_u32 v25, vcc_lo, v14, v0
	v_lshrrev_b16 v18, 11, v18
	v_sub_nc_u32_e32 v17, v16, v17
	v_add_co_ci_u32_e64 v26, null, v15, v1, vcc_lo
	s_mov_b32 s7, 0
	v_add_nc_u16 v18, v9, v18
	v_lshl_add_u32 v17, v8, 8, v17
	v_ashrrev_i16 v20, 5, v18
	v_ashrrev_i32_e32 v22, 31, v17
	v_bfe_i32 v18, v20, 0, 16
	v_lshlrev_b32_sdwa v19, v19, sext(v20) dst_sel:DWORD dst_unused:UNUSED_PAD src0_sel:DWORD src1_sel:WORD_0
	v_add_co_u32 v20, vcc_lo, v25, v12
	v_add_co_ci_u32_e64 v21, null, v26, v13, vcc_lo
	v_add_co_u32 v25, vcc_lo, v25, v10
	v_ashrrev_i32_e32 v23, 31, v18
	v_ashrrev_i32_e32 v24, 31, v19
	v_add_co_ci_u32_e64 v26, null, v26, v11, vcc_lo
.LBB0_33:                               ; =>This Inner Loop Header: Depth=1
	v_add_co_u32 v27, vcc_lo, v17, v20
	v_add_co_ci_u32_e64 v28, null, v22, v21, vcc_lo
	s_clause 0x7
	flat_load_ubyte v29, v[27:28] slc
	flat_load_ubyte v30, v[27:28] offset:32 slc
	flat_load_ubyte v31, v[27:28] offset:64 slc
	;; [unrolled: 1-line block ×7, first 2 shown]
	v_add_co_u32 v27, vcc_lo, v17, v25
	v_add_co_ci_u32_e64 v28, null, v22, v26, vcc_lo
	v_sub_co_u32 v2, vcc_lo, v2, v18
	v_sub_co_ci_u32_e64 v3, null, v3, v23, vcc_lo
	v_add_co_u32 v20, vcc_lo, v20, v19
	v_add_co_ci_u32_e64 v21, null, v21, v24, vcc_lo
	v_add_co_u32 v25, vcc_lo, v25, v19
	v_add_co_ci_u32_e64 v26, null, v26, v24, vcc_lo
	v_cmp_gt_i64_e32 vcc_lo, 1, v[2:3]
	s_waitcnt vmcnt(7) lgkmcnt(7)
	flat_store_byte v[27:28], v29 glc slc
	s_waitcnt vmcnt(6) lgkmcnt(7)
	flat_store_byte v[27:28], v30 offset:32 glc slc
	s_waitcnt vmcnt(5) lgkmcnt(7)
	flat_store_byte v[27:28], v31 offset:64 glc slc
	;; [unrolled: 2-line block ×7, first 2 shown]
	s_or_b32 s7, vcc_lo, s7
	s_andn2_b32 exec_lo, exec_lo, s7
	s_cbranch_execnz .LBB0_33
; %bb.34:
	s_or_b32 exec_lo, exec_lo, s7
.LBB0_35:
	s_or_b32 exec_lo, exec_lo, s4
	v_lshlrev_b64 v[6:7], 8, v[6:7]
	v_cmp_ne_u64_e32 vcc_lo, v[4:5], v[6:7]
	s_and_b32 exec_lo, exec_lo, vcc_lo
	s_cbranch_execz .LBB0_39
; %bb.36:
	v_lshlrev_b32_e32 v3, 5, v8
	v_lshlrev_b32_e32 v2, 5, v2
	v_sub_nc_u32_e32 v3, v16, v3
	v_sub_nc_u32_e32 v8, v3, v2
	v_ashrrev_i32_e32 v16, 31, v8
	v_add_co_u32 v2, vcc_lo, v6, v8
	v_add_co_ci_u32_e64 v3, null, v7, v16, vcc_lo
	v_sub_co_u32 v2, vcc_lo, v4, v2
	v_sub_co_ci_u32_e64 v3, null, v5, v3, vcc_lo
	v_cmp_lt_i64_e32 vcc_lo, 0, v[2:3]
	s_and_b32 exec_lo, exec_lo, vcc_lo
	s_cbranch_execz .LBB0_39
; %bb.37:
	v_ashrrev_i16 v4, 15, v9
	v_mov_b32_e32 v5, 5
	s_mov_b32 s7, 0
	v_lshrrev_b16 v4, 11, v4
	v_add_nc_u16 v4, v9, v4
	v_add_co_u32 v9, vcc_lo, v14, v0
	v_add_co_ci_u32_e64 v1, null, v15, v1, vcc_lo
	v_ashrrev_i16 v4, 5, v4
	v_lshlrev_b32_sdwa v0, v5, sext(v4) dst_sel:DWORD dst_unused:UNUSED_PAD src0_sel:DWORD src1_sel:WORD_0
	v_add_co_u32 v4, vcc_lo, v9, v6
	v_add_co_ci_u32_e64 v5, null, v1, v7, vcc_lo
	v_ashrrev_i32_e32 v1, 31, v0
	v_add_co_u32 v4, vcc_lo, v4, v8
	v_add_co_ci_u32_e64 v5, null, v5, v16, vcc_lo
	.p2align	6
.LBB0_38:                               ; =>This Inner Loop Header: Depth=1
	v_add_co_u32 v6, vcc_lo, v12, v4
	v_add_co_ci_u32_e64 v7, null, v13, v5, vcc_lo
	v_sub_co_u32 v2, vcc_lo, v2, v0
	v_sub_co_ci_u32_e64 v3, null, v3, v1, vcc_lo
	flat_load_ubyte v8, v[6:7] slc
	v_add_co_u32 v6, vcc_lo, v10, v4
	v_add_co_ci_u32_e64 v7, null, v11, v5, vcc_lo
	v_cmp_gt_i64_e32 vcc_lo, 1, v[2:3]
	v_add_co_u32 v4, s4, v4, v0
	v_add_co_ci_u32_e64 v5, null, v5, v1, s4
	s_or_b32 s7, vcc_lo, s7
	s_waitcnt vmcnt(0) lgkmcnt(0)
	flat_store_byte v[6:7], v8 glc slc
	s_andn2_b32 exec_lo, exec_lo, s7
	s_cbranch_execnz .LBB0_38
.LBB0_39:
	s_or_b32 exec_lo, exec_lo, s6
                                        ; implicit-def: $vgpr48_vgpr49
                                        ; implicit-def: $vgpr14_vgpr15
                                        ; implicit-def: $vgpr4_vgpr5
                                        ; implicit-def: $vgpr38_vgpr39
                                        ; implicit-def: $vgpr3
                                        ; implicit-def: $vgpr2
                                        ; implicit-def: $vgpr0
                                        ; implicit-def: $vgpr31
                                        ; implicit-def: $vgpr12_vgpr13
                                        ; implicit-def: $vgpr8_vgpr9
	s_andn2_saveexec_b32 s15, s5
	s_cbranch_execz .LBB0_10
.LBB0_40:
	s_load_dword s4, s[8:9], 0x0
	v_mov_b32_e32 v7, 0
	v_ashrrev_i32_e32 v1, 31, v0
	s_waitcnt vmcnt(2)
	v_lshrrev_b64 v[8:9], 31, v[8:9]
	v_lshrrev_b32_e32 v16, 27, v1
	v_and_b32_e32 v8, 3, v8
	v_add_nc_u32_e32 v16, v0, v16
	v_and_b32_e32 v24, 0xffff, v8
	v_and_b32_e32 v9, 0xffffffe0, v16
	v_mov_b32_e32 v16, 0
	v_mov_b32_e32 v17, 0
	s_waitcnt lgkmcnt(0)
	s_cmp_lt_u32 s12, s4
	v_sub_nc_u32_e32 v28, v0, v9
	s_cselect_b32 s4, 12, 18
	s_add_u32 s4, s8, s4
	s_addc_u32 s5, s9, 0
	global_load_ushort v30, v7, s[4:5]
	s_trap 2
	ds_read_b32 v6, v0
	v_cmp_eq_u32_e64 s4, 0, v28
	s_mov_b32 s5, 0
	s_waitcnt lgkmcnt(0)
	v_cmp_gt_i32_e32 vcc_lo, 0, v6
	v_readfirstlane_b32 s11, v6
	s_cbranch_vccnz .LBB0_42
; %bb.41:
	s_trap 2
	ds_read_b64 v[8:9], v0
	v_lshlrev_b64 v[6:7], 3, v[6:7]
	s_mov_b32 s5, 1
	s_waitcnt lgkmcnt(0)
	v_add_co_u32 v6, vcc_lo, v8, v6
	v_add_co_ci_u32_e64 v7, null, v9, v7, vcc_lo
	flat_load_dwordx2 v[6:7], v[6:7]
	s_waitcnt vmcnt(0) lgkmcnt(0)
	v_mad_u64_u32 v[6:7], null, 0xa8, v24, v[6:7]
	s_clause 0x1
	flat_load_dwordx2 v[20:21], v[6:7] offset:504
	flat_load_dwordx2 v[22:23], v[6:7] offset:608
	v_add_co_u32 v18, vcc_lo, 0x1f8, v6
	v_add_co_ci_u32_e64 v19, null, 0, v7, vcc_lo
	v_cndmask_b32_e64 v8, 0, v18, s4
	v_cndmask_b32_e64 v9, 0, v19, s4
	s_branch .LBB0_43
.LBB0_42:
	v_mov_b32_e32 v18, 0
	v_mov_b32_e32 v8, 0
	;; [unrolled: 1-line block ×4, first 2 shown]
                                        ; implicit-def: $vgpr22_vgpr23
                                        ; implicit-def: $vgpr20_vgpr21
.LBB0_43:
	s_trap 2
	ds_read_b32 v6, v0
	s_waitcnt lgkmcnt(0)
	v_cmp_gt_i32_e32 vcc_lo, 0, v6
	s_cbranch_vccnz .LBB0_45
; %bb.44:
	s_trap 2
	ds_read_b64 v[16:17], v0
	v_mov_b32_e32 v7, 0
	v_lshlrev_b64 v[6:7], 3, v[6:7]
	s_waitcnt lgkmcnt(0)
	v_add_co_u32 v6, vcc_lo, v16, v6
	v_add_co_ci_u32_e64 v7, null, v17, v7, vcc_lo
	v_cmp_eq_u32_e32 vcc_lo, 0, v28
	flat_load_dwordx2 v[6:7], v[6:7]
	s_waitcnt vmcnt(0) lgkmcnt(0)
	v_mad_u64_u32 v[16:17], null, 0xa8, v24, v[6:7]
	s_clause 0x1
	flat_load_dwordx2 v[24:25], v[16:17]
	flat_load_dwordx2 v[26:27], v[16:17] offset:104
	v_cndmask_b32_e32 v37, 0, v17, vcc_lo
	v_cndmask_b32_e32 v36, 0, v16, vcc_lo
	s_branch .LBB0_46
.LBB0_45:
	v_mov_b32_e32 v36, 0
	v_mov_b32_e32 v37, 0
                                        ; implicit-def: $vgpr26_vgpr27
                                        ; implicit-def: $vgpr24_vgpr25
.LBB0_46:
	v_subrev_nc_u32_e32 v6, 32, v2
	v_cmp_gt_i32_e32 vcc_lo, s5, v28
	v_mov_b32_e32 v32, 0
	v_mov_b32_e32 v33, 0
                                        ; implicit-def: $vgpr28_vgpr29
	v_cmp_ge_i32_e64 s4, v0, v6
	v_mov_b32_e32 v6, 0
	v_mov_b32_e32 v7, 0
	s_and_b32 s16, s4, vcc_lo
	s_and_saveexec_b32 s4, s16
	s_cbranch_execz .LBB0_48
; %bb.47:
	s_clause 0x1
	flat_load_dwordx2 v[32:33], v[8:9] offset:56
	flat_load_dwordx2 v[28:29], v[8:9] offset:104
.LBB0_48:
	s_or_b32 exec_lo, exec_lo, s4
	v_mov_b32_e32 v34, 0
	v_mov_b32_e32 v35, 0
	v_cmp_gt_i32_e64 s4, s5, v0
                                        ; implicit-def: $vgpr50_vgpr51
	s_and_saveexec_b32 s5, s4
	s_cbranch_execz .LBB0_50
; %bb.49:
	flat_load_dwordx2 v[34:35], v[36:37] offset:56
	s_waitcnt vmcnt(0) lgkmcnt(0)
	flat_load_dwordx2 v[50:51], v[34:35] glc dlc
	s_waitcnt vmcnt(0)
	flat_load_dwordx4 v[6:9], v[36:37] offset:96
.LBB0_50:
	s_or_b32 exec_lo, exec_lo, s5
	v_mov_b32_e32 v36, 0
	v_mov_b32_e32 v37, 0
	s_mov_b32 s17, exec_lo
	v_cmpx_ne_u64_e32 0, v[4:5]
	s_cbranch_execnz .LBB0_66
; %bb.51:
	s_or_b32 exec_lo, exec_lo, s17
	s_and_saveexec_b32 s5, s16
	s_cbranch_execnz .LBB0_339
.LBB0_52:
	s_or_b32 exec_lo, exec_lo, s5
	s_and_saveexec_b32 s5, s4
	s_cbranch_execz .LBB0_54
.LBB0_53:
	s_waitcnt vmcnt(0) lgkmcnt(0)
	flat_store_dwordx2 v[16:17], v[8:9] offset:104
.LBB0_54:
	s_or_b32 exec_lo, exec_lo, s5
	s_mov_b32 s4, exec_lo
	v_cmpx_ne_u32_e32 32, v2
	s_cbranch_execz .LBB0_346
; %bb.55:
	s_waitcnt vmcnt(0)
	v_cmp_ne_u32_sdwa s5, v2, v30 src0_sel:DWORD src1_sel:WORD_0
	s_and_saveexec_b32 s6, s5
	s_xor_b32 s5, exec_lo, s6
	s_cbranch_execz .LBB0_344
; %bb.56:
	v_and_b32_e32 v0, 31, v31
	s_mov_b32 s6, exec_lo
	v_cmpx_eq_u32_e32 0, v0
	s_cbranch_execz .LBB0_343
; %bb.57:
	s_mov_b32 s8, exec_lo
	s_mov_b32 s7, exec_lo
	v_mbcnt_lo_u32_b32 v0, s8, 0
	s_waitcnt lgkmcnt(0)
	s_waitcnt_vscnt null, 0x0
	buffer_gl1_inv
	buffer_gl0_inv
	v_cmpx_eq_u32_e32 0, v0
	s_cbranch_execz .LBB0_59
; %bb.58:
	s_bcnt1_i32_b32 s8, s8
	v_mov_b32_e32 v1, 0
	v_mov_b32_e32 v0, s8
	ds_add_u64 v0, v[0:1]
	s_trap 2
.LBB0_59:
	s_or_b32 exec_lo, exec_lo, s7
	s_trap 2
	ds_read_b64 v[3:4], v0
	s_waitcnt lgkmcnt(0)
	buffer_gl0_inv
	v_lshrrev_b32_e32 v0, 5, v2
	s_mov_b32 s7, exec_lo
	v_add_co_u32 v0, vcc_lo, v36, v0
	v_add_co_ci_u32_e64 v1, null, 0, v37, vcc_lo
	v_cmpx_lt_u64_e64 v[3:4], v[0:1]
	s_cbranch_execz .LBB0_342
; %bb.60:
	s_mov_b32 s8, 0
	s_mov_b32 s11, 0
                                        ; implicit-def: $sgpr9
                                        ; implicit-def: $sgpr10
	s_inst_prefetch 0x1
	s_branch .LBB0_62
	.p2align	6
.LBB0_61:                               ;   in Loop: Header=BB0_62 Depth=1
	s_or_b32 exec_lo, exec_lo, s13
	s_and_b32 s12, exec_lo, s14
	s_or_b32 s8, s12, s8
	s_andn2_b32 s9, s9, exec_lo
	s_and_b32 s12, s10, exec_lo
	s_or_b32 s9, s9, s12
	s_andn2_b32 exec_lo, exec_lo, s8
	s_cbranch_execz .LBB0_340
.LBB0_62:                               ; =>This Inner Loop Header: Depth=1
	s_add_i32 s11, s11, 1
	s_cmpk_lg_i32 s11, 0x2710
	s_cselect_b32 s12, -1, 0
	s_and_b32 vcc_lo, exec_lo, s12
	s_cbranch_vccz .LBB0_64
; %bb.63:                               ;   in Loop: Header=BB0_62 Depth=1
	s_mov_b32 s14, -1
	s_or_b32 s10, s10, exec_lo
	s_and_saveexec_b32 s13, s12
	s_cbranch_execz .LBB0_61
	s_branch .LBB0_65
	.p2align	6
.LBB0_64:                               ;   in Loop: Header=BB0_62 Depth=1
	s_trap 2
	ds_read_b64 v[2:3], v0
	s_andn2_b32 s12, s12, exec_lo
	s_mov_b32 s11, 0
	s_waitcnt lgkmcnt(0)
	flat_load_dword v2, v[2:3] glc dlc
	s_waitcnt vmcnt(0) lgkmcnt(0)
	buffer_gl1_inv
	buffer_gl0_inv
	v_cmp_eq_u32_e32 vcc_lo, 0, v2
	s_and_b32 s13, vcc_lo, exec_lo
	s_or_b32 s12, s12, s13
	s_mov_b32 s14, -1
	s_or_b32 s10, s10, exec_lo
	s_and_saveexec_b32 s13, s12
	s_cbranch_execz .LBB0_61
.LBB0_65:                               ;   in Loop: Header=BB0_62 Depth=1
	s_sleep 1
	s_trap 2
	ds_read_b64 v[2:3], v0
	s_waitcnt lgkmcnt(0)
	buffer_gl0_inv
	s_andn2_b32 s10, s10, exec_lo
	v_cmp_ge_u64_e32 vcc_lo, v[2:3], v[0:1]
	s_orn2_b32 s14, vcc_lo, exec_lo
	s_branch .LBB0_61
.LBB0_66:
	v_cvt_f64_u32_e32 v[36:37], 0
	s_waitcnt vmcnt(2)
	v_lshlrev_b32_e32 v52, 4, v38
	v_lshlrev_b32_e32 v84, 3, v0
	s_ashr_i32 s12, s11, 31
	v_mov_b32_e32 v39, 0
	s_lshr_b32 s12, s12, 29
	v_and_b32_e32 v82, 0x1fffff0, v52
	v_ashrrev_i32_e32 v54, 31, v84
	s_add_i32 s14, s11, s12
	v_add_co_u32 v66, s12, v14, v84
	v_cvt_f64_u32_e32 v[64:65], v82
	v_add_co_ci_u32_e64 v67, null, v15, v54, s12
	s_ashr_i32 s19, s14, 7
	s_waitcnt vmcnt(1)
	v_add_co_u32 v86, s14, v10, v84
	v_cmp_ne_u32_e64 s5, v48, v3
	v_cmp_ne_u32_e64 s6, v49, v3
	v_and_b32_e32 v3, 31, v31
	v_add_co_ci_u32_e64 v87, null, v11, v54, s14
	v_ldexp_f64 v[36:37], v[36:37], 32
	v_add_co_u32 v54, s12, v66, v12
	v_cmp_ne_u64_e32 vcc_lo, v[12:13], v[10:11]
	v_add_co_ci_u32_e64 v55, null, v67, v13, s12
	v_lshlrev_b64 v[12:13], 4, v[0:1]
	v_cmp_eq_u32_e64 s11, 0, v3
	v_mov_b32_e32 v3, v39
	v_and_b32_e32 v38, 0x1fffff, v38
	v_add_co_u32 v1, s12, v10, v66
	v_add_co_ci_u32_e64 v99, null, v11, v67, s12
	s_waitcnt lgkmcnt(1)
	v_add_co_u32 v100, s12, v24, v12
	v_mov_b32_e32 v48, 0
	v_cmp_ne_u64_e64 s7, 0, v[34:35]
	s_waitcnt vmcnt(0) lgkmcnt(0)
	v_cmp_ne_u64_e64 s8, 0, v[6:7]
	v_cmp_ne_u64_e64 s10, 0, v[32:33]
	v_lshlrev_b64 v[52:53], 4, v[2:3]
	v_mov_b32_e32 v49, 0
	v_add_f64 v[64:65], v[36:37], v[64:65]
	v_mov_b32_e32 v36, 0
	v_cmp_ne_u32_e64 s9, 32, v2
	v_cmp_ne_u32_sdwa s18, v2, v30 src0_sel:DWORD src1_sel:WORD_0
	v_lshrrev_b32_e32 v83, 5, v2
	v_lshlrev_b32_e32 v85, 3, v2
	v_not_b32_e32 v3, v84
	v_lshlrev_b32_e32 v96, 3, v54
	v_lshlrev_b32_e32 v97, 7, v38
	v_lshlrev_b32_e32 v98, 6, v2
	v_add_co_ci_u32_e64 v101, null, v25, v13, s12
	v_mov_b32_e32 v102, 1
	v_mov_b32_e32 v37, 0
	;; [unrolled: 1-line block ×3, first 2 shown]
	s_xor_b32 s12, s13, -1
	s_mov_b32 s13, 0
	s_and_b32 s14, s12, vcc_lo
	s_branch .LBB0_70
.LBB0_67:                               ;   in Loop: Header=BB0_70 Depth=1
	s_or_b32 exec_lo, exec_lo, s22
	v_add_co_u32 v26, vcc_lo, v26, 1
	v_add_co_ci_u32_e64 v27, null, 0, v27, vcc_lo
.LBB0_68:                               ;   in Loop: Header=BB0_70 Depth=1
	s_or_b32 exec_lo, exec_lo, s21
.LBB0_69:                               ;   in Loop: Header=BB0_70 Depth=1
	s_or_b32 exec_lo, exec_lo, s20
	v_add_co_u32 v48, vcc_lo, v48, v82
	v_add_co_ci_u32_e64 v49, null, 0, v49, vcc_lo
	v_add_co_u32 v54, vcc_lo, v54, v82
	v_add_co_ci_u32_e64 v55, null, 0, v55, vcc_lo
	v_cmp_ge_u64_e32 vcc_lo, v[48:49], v[4:5]
	v_add_co_u32 v1, s12, v1, v82
	v_add_nc_u32_e32 v96, v96, v97
	v_add_co_ci_u32_e64 v99, null, 0, v99, s12
	s_or_b32 s13, vcc_lo, s13
	s_andn2_b32 exec_lo, exec_lo, s13
	s_cbranch_execz .LBB0_338
.LBB0_70:                               ; =>This Loop Header: Depth=1
                                        ;     Child Loop BB0_77 Depth 2
                                        ;     Child Loop BB0_96 Depth 2
                                        ;     Child Loop BB0_136 Depth 2
                                        ;       Child Loop BB0_140 Depth 3
                                        ;     Child Loop BB0_206 Depth 2
                                        ;     Child Loop BB0_113 Depth 2
                                        ;     Child Loop BB0_168 Depth 2
                                        ;       Child Loop BB0_172 Depth 3
                                        ;     Child Loop BB0_218 Depth 2
                                        ;     Child Loop BB0_128 Depth 2
	;; [unrolled: 1-line block ×9, first 2 shown]
	s_waitcnt vmcnt(0)
	v_sub_co_u32 v12, vcc_lo, v4, v48
	v_sub_co_ci_u32_e64 v10, null, v5, v49, vcc_lo
	v_cvt_f64_u32_e32 v[12:13], v12
	v_cvt_f64_u32_e32 v[10:11], v10
	v_ldexp_f64 v[10:11], v[10:11], 32
	v_add_f64 v[10:11], v[10:11], v[12:13]
	v_max_f64 v[12:13], v[64:65], v[64:65]
	v_min_f64 v[10:11], v[12:13], v[10:11]
	v_cvt_i32_f64_e32 v10, v[10:11]
	v_max_i32_e32 v12, 0, v10
	s_and_saveexec_b32 s12, s5
	s_xor_b32 s20, exec_lo, s12
	s_cbranch_execz .LBB0_121
; %bb.71:                               ;   in Loop: Header=BB0_70 Depth=1
	v_add_co_u32 v13, vcc_lo, v48, v14
	v_add_co_ci_u32_e64 v67, null, v49, v15, vcc_lo
	s_and_saveexec_b32 s12, s6
	s_xor_b32 s21, exec_lo, s12
	s_cbranch_execz .LBB0_115
; %bb.72:                               ;   in Loop: Header=BB0_70 Depth=1
	s_and_saveexec_b32 s22, s7
	s_cbranch_execz .LBB0_88
; %bb.73:                               ;   in Loop: Header=BB0_70 Depth=1
	v_add_co_u32 v10, vcc_lo, v8, 1
	v_add_co_ci_u32_e64 v11, null, 0, v9, vcc_lo
	s_waitcnt lgkmcnt(0)
	v_add_co_u32 v68, vcc_lo, v50, 8
	v_add_co_ci_u32_e64 v69, null, 0, v51, vcc_lo
	s_mov_b32 s23, exec_lo
	v_cmpx_lt_u64_e64 v[68:69], v[10:11]
	s_cbranch_execz .LBB0_85
; %bb.74:                               ;   in Loop: Header=BB0_70 Depth=1
	s_mov_b32 s24, 0
	s_mov_b32 s28, 0
	v_cmp_eq_u32_e32 vcc_lo, 0, v103
                                        ; implicit-def: $sgpr25
                                        ; implicit-def: $sgpr26
                                        ; implicit-def: $sgpr27
	s_branch .LBB0_77
.LBB0_75:                               ;   in Loop: Header=BB0_77 Depth=2
	s_or_b32 exec_lo, exec_lo, s43
	s_andn2_b32 s12, s27, exec_lo
	s_and_b32 s27, s41, exec_lo
	s_andn2_b32 s26, s26, exec_lo
	s_and_b32 s40, s40, exec_lo
	s_or_b32 s27, s12, s27
	s_or_b32 s26, s26, s40
.LBB0_76:                               ;   in Loop: Header=BB0_77 Depth=2
	s_or_b32 exec_lo, exec_lo, s29
	s_and_b32 s12, exec_lo, s26
	s_or_b32 s24, s12, s24
	s_andn2_b32 s12, s25, exec_lo
	s_and_b32 s25, s27, exec_lo
	s_or_b32 s25, s12, s25
	s_andn2_b32 exec_lo, exec_lo, s24
	s_cbranch_execz .LBB0_82
.LBB0_77:                               ;   Parent Loop BB0_70 Depth=1
                                        ; =>  This Inner Loop Header: Depth=2
	s_sleep 1
	s_waitcnt vmcnt(0) lgkmcnt(0)
	flat_load_dwordx2 v[50:51], v[34:35] glc dlc
	v_mov_b32_e32 v103, 1
	s_or_b32 s27, s27, exec_lo
	s_or_b32 s26, s26, exec_lo
                                        ; implicit-def: $vgpr9
	s_and_saveexec_b32 s29, vcc_lo
	s_cbranch_execz .LBB0_76
; %bb.78:                               ;   in Loop: Header=BB0_77 Depth=2
	s_add_i32 s28, s28, 1
	s_mov_b32 s40, -1
	s_cmpk_lg_i32 s28, 0x2710
	s_mov_b32 s41, -1
	s_cselect_b32 s42, -1, 0
	s_cmpk_eq_i32 s28, 0x2710
                                        ; implicit-def: $vgpr9
	s_cbranch_scc1 .LBB0_80
; %bb.79:                               ;   in Loop: Header=BB0_77 Depth=2
	v_mov_b32_e32 v103, 1
	s_and_saveexec_b32 s43, s42
	s_cbranch_execz .LBB0_75
	s_branch .LBB0_81
.LBB0_80:                               ;   in Loop: Header=BB0_77 Depth=2
	s_trap 2
	ds_read_b64 v[68:69], v0
	s_andn2_b32 s28, s42, exec_lo
	s_mov_b32 s41, 0
	s_waitcnt vmcnt(0) lgkmcnt(0)
	s_waitcnt_vscnt null, 0x0
	flat_load_dword v9, v[68:69] glc dlc
	s_waitcnt vmcnt(0) lgkmcnt(0)
	buffer_gl1_inv
	buffer_gl0_inv
	v_cmp_eq_u32_e64 s12, 0, v9
	s_and_b32 s12, s12, exec_lo
	s_or_b32 s42, s28, s12
	s_mov_b32 s28, 0
	v_mov_b32_e32 v103, 1
	s_and_saveexec_b32 s43, s42
	s_cbranch_execz .LBB0_75
.LBB0_81:                               ;   in Loop: Header=BB0_77 Depth=2
	s_waitcnt vmcnt(0) lgkmcnt(0)
	v_add_co_u32 v68, s12, v50, 8
	v_add_co_ci_u32_e64 v69, null, 0, v51, s12
	v_mov_b32_e32 v103, 0
	s_or_b32 s41, s41, exec_lo
	v_cmp_ge_u64_e64 s12, v[68:69], v[10:11]
	s_orn2_b32 s40, s12, exec_lo
	s_branch .LBB0_75
.LBB0_82:                               ;   in Loop: Header=BB0_70 Depth=1
	s_or_b32 exec_lo, exec_lo, s24
	s_xor_b32 s12, s25, -1
	s_and_saveexec_b32 s24, s12
	s_xor_b32 s12, exec_lo, s24
	s_cbranch_execz .LBB0_84
; %bb.83:                               ;   in Loop: Header=BB0_70 Depth=1
	v_mov_b32_e32 v103, 1
	s_waitcnt vmcnt(0) lgkmcnt(0)
	s_waitcnt_vscnt null, 0x0
	ds_write_b32 v0, v9
	s_trap 2
.LBB0_84:                               ;   in Loop: Header=BB0_70 Depth=1
	s_or_b32 exec_lo, exec_lo, s12
.LBB0_85:                               ;   in Loop: Header=BB0_70 Depth=1
	s_or_b32 exec_lo, exec_lo, s23
	s_and_saveexec_b32 s12, s8
	s_cbranch_execz .LBB0_87
; %bb.86:                               ;   in Loop: Header=BB0_70 Depth=1
	v_add_nc_u32_e32 v9, 7, v12
	v_ashrrev_i32_e32 v38, 31, v9
	v_lshrrev_b32_e32 v38, 29, v38
	v_add_nc_u32_e32 v9, v9, v38
	v_and_b32_e32 v38, 0x7ffffff8, v8
	v_lshrrev_b32_e32 v9, 3, v9
	v_cmp_eq_u64_e32 vcc_lo, 0x7ffffff8, v[38:39]
	v_and_b32_e32 v38, 7, v8
	v_mad_u64_u32 v[68:69], null, v38, 24, v[6:7]
	v_cndmask_b32_e64 v9, v9, s19, vcc_lo
	v_lshlrev_b32_e32 v8, 4, v9
	v_ashrrev_i32_e32 v9, 31, v8
	flat_store_dwordx2 v[68:69], v[8:9] offset:8
	s_waitcnt_vscnt null, 0x0
.LBB0_87:                               ;   in Loop: Header=BB0_70 Depth=1
	s_or_b32 exec_lo, exec_lo, s12
	v_mov_b32_e32 v8, v10
	v_mov_b32_e32 v9, v11
.LBB0_88:                               ;   in Loop: Header=BB0_70 Depth=1
	s_or_b32 exec_lo, exec_lo, s22
	s_and_saveexec_b32 s12, s9
	s_cbranch_execz .LBB0_107
; %bb.89:                               ;   in Loop: Header=BB0_70 Depth=1
	s_and_saveexec_b32 s22, s18
	s_xor_b32 s22, exec_lo, s22
	s_cbranch_execz .LBB0_104
; %bb.90:                               ;   in Loop: Header=BB0_70 Depth=1
	s_and_saveexec_b32 s23, s11
	s_cbranch_execz .LBB0_103
; %bb.91:                               ;   in Loop: Header=BB0_70 Depth=1
	s_mov_b32 s25, exec_lo
	s_mov_b32 s24, exec_lo
	v_mbcnt_lo_u32_b32 v10, s25, 0
	s_waitcnt vmcnt(0) lgkmcnt(0)
	s_waitcnt_vscnt null, 0x0
	buffer_gl1_inv
	buffer_gl0_inv
	v_cmpx_eq_u32_e32 0, v10
	s_cbranch_execz .LBB0_93
; %bb.92:                               ;   in Loop: Header=BB0_70 Depth=1
	s_bcnt1_i32_b32 s25, s25
	v_mov_b32_e32 v38, s25
	ds_add_u64 v0, v[38:39]
	s_trap 2
.LBB0_93:                               ;   in Loop: Header=BB0_70 Depth=1
	s_or_b32 exec_lo, exec_lo, s24
	s_trap 2
	ds_read_b64 v[10:11], v0
	s_waitcnt lgkmcnt(0)
	buffer_gl0_inv
	v_add_co_u32 v36, vcc_lo, v36, v83
	v_add_co_ci_u32_e64 v37, null, 0, v37, vcc_lo
	s_mov_b32 s24, exec_lo
	v_cmpx_lt_u64_e64 v[10:11], v[36:37]
	s_cbranch_execz .LBB0_102
; %bb.94:                               ;   in Loop: Header=BB0_70 Depth=1
	s_mov_b32 s25, 0
	s_mov_b32 s28, 0
                                        ; implicit-def: $sgpr26
                                        ; implicit-def: $sgpr27
	s_inst_prefetch 0x1
	s_branch .LBB0_96
	.p2align	6
.LBB0_95:                               ;   in Loop: Header=BB0_96 Depth=2
	s_or_b32 exec_lo, exec_lo, s40
	s_and_b32 s29, exec_lo, s41
	s_or_b32 s25, s29, s25
	s_andn2_b32 s26, s26, exec_lo
	s_and_b32 s29, s27, exec_lo
	s_or_b32 s26, s26, s29
	s_andn2_b32 exec_lo, exec_lo, s25
	s_cbranch_execz .LBB0_100
.LBB0_96:                               ;   Parent Loop BB0_70 Depth=1
                                        ; =>  This Inner Loop Header: Depth=2
	s_add_i32 s28, s28, 1
	s_cmpk_lg_i32 s28, 0x2710
	s_cselect_b32 s29, -1, 0
	s_and_b32 vcc_lo, exec_lo, s29
	s_cbranch_vccz .LBB0_98
; %bb.97:                               ;   in Loop: Header=BB0_96 Depth=2
	s_mov_b32 s41, -1
	s_or_b32 s27, s27, exec_lo
	s_and_saveexec_b32 s40, s29
	s_cbranch_execz .LBB0_95
	s_branch .LBB0_99
	.p2align	6
.LBB0_98:                               ;   in Loop: Header=BB0_96 Depth=2
	s_trap 2
	ds_read_b64 v[10:11], v0
	s_andn2_b32 s29, s29, exec_lo
	s_mov_b32 s28, 0
	s_waitcnt lgkmcnt(0)
	flat_load_dword v10, v[10:11] glc dlc
	s_waitcnt vmcnt(0) lgkmcnt(0)
	buffer_gl1_inv
	buffer_gl0_inv
	v_cmp_eq_u32_e32 vcc_lo, 0, v10
	s_and_b32 s40, vcc_lo, exec_lo
	s_or_b32 s29, s29, s40
	s_mov_b32 s41, -1
	s_or_b32 s27, s27, exec_lo
	s_and_saveexec_b32 s40, s29
	s_cbranch_execz .LBB0_95
.LBB0_99:                               ;   in Loop: Header=BB0_96 Depth=2
	s_sleep 1
	s_trap 2
	ds_read_b64 v[10:11], v0
	s_waitcnt lgkmcnt(0)
	buffer_gl0_inv
	s_andn2_b32 s27, s27, exec_lo
	v_cmp_ge_u64_e32 vcc_lo, v[10:11], v[36:37]
	s_orn2_b32 s41, vcc_lo, exec_lo
	s_branch .LBB0_95
.LBB0_100:                              ;   in Loop: Header=BB0_70 Depth=1
	s_inst_prefetch 0x2
	s_or_b32 exec_lo, exec_lo, s25
	s_and_saveexec_b32 s25, s26
	s_xor_b32 s25, exec_lo, s25
	s_cbranch_execz .LBB0_102
; %bb.101:                              ;   in Loop: Header=BB0_70 Depth=1
	ds_write_b32 v0, v102
	s_trap 2
.LBB0_102:                              ;   in Loop: Header=BB0_70 Depth=1
	s_or_b32 exec_lo, exec_lo, s24
	;;#ASMSTART
	s_wakeup
	;;#ASMEND
.LBB0_103:                              ;   in Loop: Header=BB0_70 Depth=1
	s_or_b32 exec_lo, exec_lo, s23
.LBB0_104:                              ;   in Loop: Header=BB0_70 Depth=1
	s_andn2_saveexec_b32 s22, s22
	s_cbranch_execz .LBB0_106
; %bb.105:                              ;   in Loop: Header=BB0_70 Depth=1
	s_waitcnt vmcnt(0) lgkmcnt(0)
	s_waitcnt_vscnt null, 0x0
	buffer_gl1_inv
	buffer_gl0_inv
	s_barrier
.LBB0_106:                              ;   in Loop: Header=BB0_70 Depth=1
	s_or_b32 exec_lo, exec_lo, s22
.LBB0_107:                              ;   in Loop: Header=BB0_70 Depth=1
	s_or_b32 exec_lo, exec_lo, s12
	v_sub_nc_u32_e32 v38, v12, v84
	v_mov_b32_e32 v66, v0
	s_mov_b32 s22, exec_lo
	v_cmpx_lt_i32_e32 0, v38
	s_cbranch_execnz .LBB0_134
; %bb.108:                              ;   in Loop: Header=BB0_70 Depth=1
	s_or_b32 exec_lo, exec_lo, s22
	s_and_saveexec_b32 s12, s9
	s_cbranch_execnz .LBB0_199
.LBB0_109:                              ;   in Loop: Header=BB0_70 Depth=1
	s_or_b32 exec_lo, exec_lo, s12
	s_and_saveexec_b32 s12, s10
	s_cbranch_execz .LBB0_111
.LBB0_110:                              ;   in Loop: Header=BB0_70 Depth=1
	v_add_co_u32 v28, vcc_lo, v28, 1
	v_add_co_ci_u32_e64 v29, null, 0, v29, vcc_lo
	s_waitcnt vmcnt(0) lgkmcnt(0)
	s_waitcnt_vscnt null, 0x0
	flat_store_dwordx2 v[32:33], v[28:29]
.LBB0_111:                              ;   in Loop: Header=BB0_70 Depth=1
	s_or_b32 exec_lo, exec_lo, s12
	v_and_b32_e32 v38, 0x7ffffff8, v26
	v_cmp_gt_i32_e64 s12, s19, v66
	v_cmp_eq_u64_e32 vcc_lo, 0x7ffffff8, v[38:39]
	s_and_b32 s12, vcc_lo, s12
	s_and_saveexec_b32 s22, s12
	s_cbranch_execz .LBB0_114
; %bb.112:                              ;   in Loop: Header=BB0_70 Depth=1
	v_and_b32_e32 v10, 7, v26
	v_ashrrev_i32_e32 v67, 31, v66
	s_mov_b32 s23, 0
	v_mul_lo_u32 v10, v10, s19
	v_lshlrev_b64 v[12:13], 4, v[66:67]
	v_ashrrev_i32_e32 v11, 31, v10
	v_lshlrev_b64 v[67:68], 4, v[10:11]
	v_add_nc_u32_e32 v11, 1, v26
	v_mov_b32_e32 v10, v39
	v_add_co_u32 v12, vcc_lo, v12, v67
	v_add_co_ci_u32_e64 v13, null, v13, v68, vcc_lo
	v_add_co_u32 v67, vcc_lo, v24, v12
	v_add_co_ci_u32_e64 v68, null, v25, v13, vcc_lo
.LBB0_113:                              ;   Parent Loop BB0_70 Depth=1
                                        ; =>  This Inner Loop Header: Depth=2
	v_mov_b32_e32 v12, v10
	v_add_nc_u32_e32 v66, v66, v2
	v_mov_b32_e32 v13, v11
	v_cmp_le_i32_e32 vcc_lo, s19, v66
	global_store_dwordx4 v[67:68], v[10:13], off
	v_add_co_u32 v67, s12, v67, v52
	v_add_co_ci_u32_e64 v68, null, v68, v53, s12
	s_or_b32 s23, vcc_lo, s23
	s_andn2_b32 exec_lo, exec_lo, s23
	s_cbranch_execnz .LBB0_113
.LBB0_114:                              ;   in Loop: Header=BB0_70 Depth=1
	s_or_b32 exec_lo, exec_lo, s22
	v_add_co_u32 v22, vcc_lo, v22, 1
	v_add_co_ci_u32_e64 v23, null, 0, v23, vcc_lo
	v_add_co_u32 v26, vcc_lo, v26, 1
	v_add_co_ci_u32_e64 v27, null, 0, v27, vcc_lo
                                        ; implicit-def: $vgpr12
                                        ; implicit-def: $vgpr13
                                        ; implicit-def: $vgpr67
.LBB0_115:                              ;   in Loop: Header=BB0_70 Depth=1
	s_andn2_saveexec_b32 s21, s21
	s_cbranch_execz .LBB0_133
; %bb.116:                              ;   in Loop: Header=BB0_70 Depth=1
	v_sub_nc_u32_e32 v38, v12, v84
	s_mov_b32 s22, exec_lo
	v_cmpx_lt_i32_e32 0, v38
	s_cbranch_execnz .LBB0_166
; %bb.117:                              ;   in Loop: Header=BB0_70 Depth=1
	s_or_b32 exec_lo, exec_lo, s22
	s_and_saveexec_b32 s12, s9
	s_cbranch_execnz .LBB0_211
.LBB0_118:                              ;   in Loop: Header=BB0_70 Depth=1
	s_or_b32 exec_lo, exec_lo, s12
	s_and_saveexec_b32 s12, s10
	s_cbranch_execz .LBB0_120
.LBB0_119:                              ;   in Loop: Header=BB0_70 Depth=1
	v_add_co_u32 v28, vcc_lo, v28, 1
	v_add_co_ci_u32_e64 v29, null, 0, v29, vcc_lo
	s_waitcnt vmcnt(0) lgkmcnt(0)
	s_waitcnt_vscnt null, 0x0
	flat_store_dwordx2 v[32:33], v[28:29]
.LBB0_120:                              ;   in Loop: Header=BB0_70 Depth=1
	s_or_b32 exec_lo, exec_lo, s12
	v_add_co_u32 v22, vcc_lo, v22, 1
	v_add_co_ci_u32_e64 v23, null, 0, v23, vcc_lo
	s_or_b32 exec_lo, exec_lo, s21
                                        ; implicit-def: $vgpr12
.LBB0_121:                              ;   in Loop: Header=BB0_70 Depth=1
	s_andn2_saveexec_b32 s20, s20
	s_cbranch_execz .LBB0_69
.LBB0_122:                              ;   in Loop: Header=BB0_70 Depth=1
	s_waitcnt vmcnt(0)
	v_add_nc_u32_e32 v10, 7, v12
	v_ashrrev_i32_e32 v11, 31, v10
	v_lshrrev_b32_e32 v11, 29, v11
	v_add_nc_u32_e32 v10, v10, v11
	v_ashrrev_i32_e32 v13, 3, v10
	s_and_saveexec_b32 s12, s14
	s_xor_b32 s21, exec_lo, s12
	s_cbranch_execz .LBB0_291
; %bb.123:                              ;   in Loop: Header=BB0_70 Depth=1
	s_and_saveexec_b32 s22, s7
	s_cbranch_execz .LBB0_228
; %bb.124:                              ;   in Loop: Header=BB0_70 Depth=1
	v_add_co_u32 v10, vcc_lo, v8, 1
	v_add_co_ci_u32_e64 v11, null, 0, v9, vcc_lo
	s_waitcnt lgkmcnt(0)
	v_add_co_u32 v66, vcc_lo, v50, 8
	v_add_co_ci_u32_e64 v67, null, 0, v51, vcc_lo
	s_mov_b32 s23, exec_lo
	v_cmpx_lt_u64_e64 v[66:67], v[10:11]
	s_cbranch_execz .LBB0_225
; %bb.125:                              ;   in Loop: Header=BB0_70 Depth=1
	s_mov_b32 s24, 0
	s_mov_b32 s28, 0
	v_cmp_eq_u32_e32 vcc_lo, 0, v103
                                        ; implicit-def: $sgpr25
                                        ; implicit-def: $sgpr26
                                        ; implicit-def: $sgpr27
	s_branch .LBB0_128
.LBB0_126:                              ;   in Loop: Header=BB0_128 Depth=2
	s_or_b32 exec_lo, exec_lo, s43
	s_andn2_b32 s12, s27, exec_lo
	s_and_b32 s27, s41, exec_lo
	s_andn2_b32 s26, s26, exec_lo
	s_and_b32 s40, s40, exec_lo
	s_or_b32 s27, s12, s27
	s_or_b32 s26, s26, s40
.LBB0_127:                              ;   in Loop: Header=BB0_128 Depth=2
	s_or_b32 exec_lo, exec_lo, s29
	s_and_b32 s12, exec_lo, s26
	s_or_b32 s24, s12, s24
	s_andn2_b32 s12, s25, exec_lo
	s_and_b32 s25, s27, exec_lo
	s_or_b32 s25, s12, s25
	s_andn2_b32 exec_lo, exec_lo, s24
	s_cbranch_execz .LBB0_222
.LBB0_128:                              ;   Parent Loop BB0_70 Depth=1
                                        ; =>  This Inner Loop Header: Depth=2
	s_sleep 1
	s_waitcnt vmcnt(0) lgkmcnt(0)
	flat_load_dwordx2 v[50:51], v[34:35] glc dlc
	v_mov_b32_e32 v103, 1
	s_or_b32 s27, s27, exec_lo
	s_or_b32 s26, s26, exec_lo
                                        ; implicit-def: $vgpr9
	s_and_saveexec_b32 s29, vcc_lo
	s_cbranch_execz .LBB0_127
; %bb.129:                              ;   in Loop: Header=BB0_128 Depth=2
	s_add_i32 s28, s28, 1
	s_mov_b32 s40, -1
	s_cmpk_lg_i32 s28, 0x2710
	s_mov_b32 s41, -1
	s_cselect_b32 s42, -1, 0
	s_cmpk_eq_i32 s28, 0x2710
                                        ; implicit-def: $vgpr9
	s_cbranch_scc1 .LBB0_131
; %bb.130:                              ;   in Loop: Header=BB0_128 Depth=2
	v_mov_b32_e32 v103, 1
	s_and_saveexec_b32 s43, s42
	s_cbranch_execz .LBB0_126
	s_branch .LBB0_132
.LBB0_131:                              ;   in Loop: Header=BB0_128 Depth=2
	s_trap 2
	ds_read_b64 v[66:67], v0
	s_andn2_b32 s28, s42, exec_lo
	s_mov_b32 s41, 0
	s_waitcnt vmcnt(0) lgkmcnt(0)
	s_waitcnt_vscnt null, 0x0
	flat_load_dword v9, v[66:67] glc dlc
	s_waitcnt vmcnt(0) lgkmcnt(0)
	buffer_gl1_inv
	buffer_gl0_inv
	v_cmp_eq_u32_e64 s12, 0, v9
	s_and_b32 s12, s12, exec_lo
	s_or_b32 s42, s28, s12
	s_mov_b32 s28, 0
	v_mov_b32_e32 v103, 1
	s_and_saveexec_b32 s43, s42
	s_cbranch_execz .LBB0_126
.LBB0_132:                              ;   in Loop: Header=BB0_128 Depth=2
	s_waitcnt vmcnt(0) lgkmcnt(0)
	v_add_co_u32 v66, s12, v50, 8
	v_add_co_ci_u32_e64 v67, null, 0, v51, s12
	v_mov_b32_e32 v103, 0
	s_or_b32 s41, s41, exec_lo
	v_cmp_ge_u64_e64 s12, v[66:67], v[10:11]
	s_orn2_b32 s40, s12, exec_lo
	s_branch .LBB0_126
.LBB0_133:                              ;   in Loop: Header=BB0_70 Depth=1
	s_or_b32 exec_lo, exec_lo, s21
                                        ; implicit-def: $vgpr12
	s_andn2_saveexec_b32 s20, s20
	s_cbranch_execz .LBB0_69
	s_branch .LBB0_122
.LBB0_134:                              ;   in Loop: Header=BB0_70 Depth=1
	v_and_b32_e32 v10, 7, v22
	v_and_b32_e32 v11, 7, v26
	v_add_co_u32 v68, vcc_lo, v86, v13
	v_add_co_ci_u32_e64 v69, null, v87, v67, vcc_lo
	v_mul_lo_u32 v10, v10, s19
	v_mul_lo_u32 v70, v11, s19
	v_add_nc_u32_e32 v112, 1, v22
	v_add_nc_u32_e32 v113, 1, v26
	v_mov_b32_e32 v66, v0
	s_mov_b32 s23, 0
	v_ashrrev_i32_e32 v11, 31, v10
	v_ashrrev_i32_e32 v71, 31, v70
	v_lshlrev_b64 v[10:11], 4, v[10:11]
	v_lshlrev_b64 v[12:13], 4, v[70:71]
	v_add_co_u32 v114, vcc_lo, v20, v10
	v_add_co_ci_u32_e64 v115, null, v21, v11, vcc_lo
	v_add_co_u32 v116, vcc_lo, v24, v12
	v_add_co_ci_u32_e64 v117, null, v25, v13, vcc_lo
	s_branch .LBB0_136
.LBB0_135:                              ;   in Loop: Header=BB0_136 Depth=2
	v_sub_nc_u32_e32 v38, v38, v85
	v_add_co_u32 v68, s12, v68, v85
	v_add_co_ci_u32_e64 v69, null, 0, v69, s12
	v_cmp_gt_i32_e32 vcc_lo, 1, v38
	v_add_nc_u32_e32 v66, v66, v2
	s_or_b32 s23, vcc_lo, s23
	s_andn2_b32 exec_lo, exec_lo, s23
	s_cbranch_execz .LBB0_198
.LBB0_136:                              ;   Parent Loop BB0_70 Depth=1
                                        ; =>  This Loop Header: Depth=2
                                        ;       Child Loop BB0_140 Depth 3
	v_ashrrev_i32_e32 v67, 31, v66
	v_lshlrev_b64 v[70:71], 4, v[66:67]
	v_add_co_u32 v80, vcc_lo, v114, v70
	v_add_co_ci_u32_e64 v81, null, v115, v71, vcc_lo
	v_cmp_eq_u32_e32 vcc_lo, 0, v103
	v_mov_b32_e32 v103, 1
	global_load_dwordx4 v[10:13], v[80:81], off slc
	s_and_saveexec_b32 s24, vcc_lo
	s_cbranch_execz .LBB0_148
; %bb.137:                              ;   in Loop: Header=BB0_136 Depth=2
	s_waitcnt vmcnt(0)
	v_cmp_ne_u32_e32 vcc_lo, v112, v11
	v_cmp_ne_u32_e64 s12, v112, v13
	v_mov_b32_e32 v103, 0
	s_or_b32 s12, vcc_lo, s12
	s_and_saveexec_b32 s25, s12
	s_cbranch_execz .LBB0_147
; %bb.138:                              ;   in Loop: Header=BB0_136 Depth=2
	s_mov_b32 s29, 1
	s_mov_b32 s27, 0
                                        ; implicit-def: $sgpr26
                                        ; implicit-def: $sgpr28
	s_inst_prefetch 0x1
	s_branch .LBB0_140
	.p2align	6
.LBB0_139:                              ;   in Loop: Header=BB0_140 Depth=3
	s_or_b32 exec_lo, exec_lo, s41
	s_and_b32 s12, exec_lo, s12
	s_or_b32 s27, s12, s27
	s_andn2_b32 s12, s26, exec_lo
	s_and_b32 s26, s28, exec_lo
	s_or_b32 s26, s12, s26
	s_andn2_b32 exec_lo, exec_lo, s27
	s_cbranch_execz .LBB0_144
.LBB0_140:                              ;   Parent Loop BB0_70 Depth=1
                                        ;     Parent Loop BB0_136 Depth=2
                                        ; =>    This Inner Loop Header: Depth=3
	global_load_dwordx4 v[10:13], v[80:81], off slc
	s_add_i32 s29, s29, 1
	s_mov_b32 s12, -1
	s_cmpk_lg_i32 s29, 0x2710
	s_mov_b32 s40, -1
                                        ; implicit-def: $vgpr67
	s_cbranch_scc0 .LBB0_142
; %bb.141:                              ;   in Loop: Header=BB0_140 Depth=3
	s_or_b32 s28, s28, exec_lo
	s_and_saveexec_b32 s41, s40
	s_cbranch_execz .LBB0_139
	s_branch .LBB0_143
	.p2align	6
.LBB0_142:                              ;   in Loop: Header=BB0_140 Depth=3
	s_trap 2
	ds_read_b64 v[118:119], v0
	s_mov_b32 s29, 0
	s_waitcnt vmcnt(0) lgkmcnt(0)
	s_waitcnt_vscnt null, 0x0
	flat_load_dword v67, v[118:119] glc dlc
	s_waitcnt vmcnt(0) lgkmcnt(0)
	buffer_gl1_inv
	buffer_gl0_inv
	v_cmp_eq_u32_e32 vcc_lo, 0, v67
	s_orn2_b32 s40, vcc_lo, exec_lo
	s_or_b32 s28, s28, exec_lo
	s_and_saveexec_b32 s41, s40
	s_cbranch_execz .LBB0_139
.LBB0_143:                              ;   in Loop: Header=BB0_140 Depth=3
	s_waitcnt vmcnt(0)
	v_cmp_eq_u32_e32 vcc_lo, v112, v11
	v_cmp_eq_u32_e64 s12, v112, v13
	s_andn2_b32 s28, s28, exec_lo
	s_and_b32 s12, vcc_lo, s12
	s_orn2_b32 s12, s12, exec_lo
	s_branch .LBB0_139
.LBB0_144:                              ;   in Loop: Header=BB0_136 Depth=2
	s_inst_prefetch 0x2
	s_or_b32 exec_lo, exec_lo, s27
	v_mov_b32_e32 v103, 0
	s_and_saveexec_b32 s12, s26
	s_xor_b32 s12, exec_lo, s12
	s_cbranch_execz .LBB0_146
; %bb.145:                              ;   in Loop: Header=BB0_136 Depth=2
	v_mov_b32_e32 v103, 1
	s_waitcnt vmcnt(0) lgkmcnt(0)
	s_waitcnt_vscnt null, 0x0
	ds_write_b32 v0, v67
	s_trap 2
.LBB0_146:                              ;   in Loop: Header=BB0_136 Depth=2
	s_or_b32 exec_lo, exec_lo, s12
.LBB0_147:                              ;   in Loop: Header=BB0_136 Depth=2
	s_or_b32 exec_lo, exec_lo, s25
.LBB0_148:                              ;   in Loop: Header=BB0_136 Depth=2
	s_or_b32 exec_lo, exec_lo, s24
	v_add_co_u32 v70, vcc_lo, v116, v70
	v_add_co_ci_u32_e64 v71, null, v117, v71, vcc_lo
	v_cmp_lt_u32_e32 vcc_lo, 7, v38
	s_waitcnt vmcnt(0)
	v_mov_b32_e32 v11, v113
	v_mov_b32_e32 v13, v113
	s_mov_b32 s12, -1
	s_cmp_lg_u32 vcc_lo, exec_lo
	global_store_dwordx4 v[70:71], v[10:13], off
	s_cbranch_scc0 .LBB0_164
; %bb.149:                              ;   in Loop: Header=BB0_136 Depth=2
	s_mov_b32 s24, exec_lo
	flat_store_byte v[68:69], v10
	v_cmpx_ne_u32_e32 1, v38
	s_cbranch_execz .LBB0_151
; %bb.150:                              ;   in Loop: Header=BB0_136 Depth=2
	v_lshrrev_b32_e32 v11, 8, v10
	flat_store_byte v[68:69], v11 offset:1
.LBB0_151:                              ;   in Loop: Header=BB0_136 Depth=2
	s_or_b32 exec_lo, exec_lo, s24
	s_mov_b32 s24, exec_lo
	v_cmpx_lt_u32_e32 2, v38
	s_cbranch_execz .LBB0_153
; %bb.152:                              ;   in Loop: Header=BB0_136 Depth=2
	flat_store_byte_d16_hi v[68:69], v10 offset:2
.LBB0_153:                              ;   in Loop: Header=BB0_136 Depth=2
	s_or_b32 exec_lo, exec_lo, s24
	s_mov_b32 s24, exec_lo
	v_cmpx_lt_u32_e32 3, v38
	s_cbranch_execz .LBB0_155
; %bb.154:                              ;   in Loop: Header=BB0_136 Depth=2
	v_lshrrev_b32_e32 v11, 24, v10
	flat_store_byte v[68:69], v11 offset:3
.LBB0_155:                              ;   in Loop: Header=BB0_136 Depth=2
	s_or_b32 exec_lo, exec_lo, s24
	s_mov_b32 s24, exec_lo
	v_cmpx_lt_u32_e32 4, v38
	s_cbranch_execz .LBB0_157
; %bb.156:                              ;   in Loop: Header=BB0_136 Depth=2
	flat_store_byte v[68:69], v12 offset:4
.LBB0_157:                              ;   in Loop: Header=BB0_136 Depth=2
	s_or_b32 exec_lo, exec_lo, s24
	s_mov_b32 s24, exec_lo
	v_cmpx_lt_u32_e32 5, v38
	s_cbranch_execz .LBB0_159
; %bb.158:                              ;   in Loop: Header=BB0_136 Depth=2
	v_lshrrev_b32_e32 v11, 8, v12
	flat_store_byte v[68:69], v11 offset:5
.LBB0_159:                              ;   in Loop: Header=BB0_136 Depth=2
	s_or_b32 exec_lo, exec_lo, s24
	s_mov_b32 s24, exec_lo
	v_cmpx_lt_u32_e32 6, v38
	s_cbranch_execz .LBB0_161
; %bb.160:                              ;   in Loop: Header=BB0_136 Depth=2
	flat_store_byte_d16_hi v[68:69], v12 offset:6
.LBB0_161:                              ;   in Loop: Header=BB0_136 Depth=2
	s_or_b32 exec_lo, exec_lo, s24
	s_and_saveexec_b32 s12, vcc_lo
	s_cbranch_execz .LBB0_163
; %bb.162:                              ;   in Loop: Header=BB0_136 Depth=2
	v_lshrrev_b32_e32 v11, 24, v12
	flat_store_byte v[68:69], v11 offset:7
.LBB0_163:                              ;   in Loop: Header=BB0_136 Depth=2
	s_or_b32 exec_lo, exec_lo, s12
	s_mov_b32 s12, 0
.LBB0_164:                              ;   in Loop: Header=BB0_136 Depth=2
	s_and_b32 vcc_lo, exec_lo, s12
	s_cbranch_vccz .LBB0_135
; %bb.165:                              ;   in Loop: Header=BB0_136 Depth=2
	v_mov_b32_e32 v11, v12
	global_store_dwordx2 v[68:69], v[10:11], off
	s_branch .LBB0_135
.LBB0_166:                              ;   in Loop: Header=BB0_70 Depth=1
	v_and_b32_e32 v10, 7, v22
	v_add_co_u32 v66, vcc_lo, v86, v13
	v_add_co_ci_u32_e64 v67, null, v87, v67, vcc_lo
	v_mul_lo_u32 v10, v10, s19
	v_add_nc_u32_e32 v71, 1, v22
	v_mov_b32_e32 v68, v0
	s_mov_b32 s23, 0
	v_ashrrev_i32_e32 v11, 31, v10
	v_lshlrev_b64 v[10:11], 4, v[10:11]
	v_add_co_u32 v80, vcc_lo, v20, v10
	v_add_co_ci_u32_e64 v81, null, v21, v11, vcc_lo
	s_branch .LBB0_168
.LBB0_167:                              ;   in Loop: Header=BB0_168 Depth=2
	v_sub_nc_u32_e32 v38, v38, v85
	v_add_co_u32 v66, s12, v66, v85
	v_add_co_ci_u32_e64 v67, null, 0, v67, s12
	v_cmp_gt_i32_e32 vcc_lo, 1, v38
	v_add_nc_u32_e32 v68, v68, v2
	s_or_b32 s23, vcc_lo, s23
	s_andn2_b32 exec_lo, exec_lo, s23
	s_cbranch_execz .LBB0_210
.LBB0_168:                              ;   Parent Loop BB0_70 Depth=1
                                        ; =>  This Loop Header: Depth=2
                                        ;       Child Loop BB0_172 Depth 3
	v_ashrrev_i32_e32 v69, 31, v68
	s_waitcnt vmcnt(0)
	v_lshlrev_b64 v[10:11], 4, v[68:69]
	v_add_co_u32 v69, vcc_lo, v80, v10
	v_add_co_ci_u32_e64 v70, null, v81, v11, vcc_lo
	v_cmp_eq_u32_e32 vcc_lo, 0, v103
	v_mov_b32_e32 v103, 1
	global_load_dwordx4 v[10:13], v[69:70], off slc
	s_and_saveexec_b32 s24, vcc_lo
	s_cbranch_execz .LBB0_180
; %bb.169:                              ;   in Loop: Header=BB0_168 Depth=2
	s_waitcnt vmcnt(0)
	v_cmp_ne_u32_e32 vcc_lo, v71, v11
	v_cmp_ne_u32_e64 s12, v71, v13
	v_mov_b32_e32 v103, 0
	s_or_b32 s12, vcc_lo, s12
	s_and_saveexec_b32 s25, s12
	s_cbranch_execz .LBB0_179
; %bb.170:                              ;   in Loop: Header=BB0_168 Depth=2
	s_mov_b32 s29, 1
	s_mov_b32 s27, 0
                                        ; implicit-def: $sgpr26
                                        ; implicit-def: $sgpr28
	s_inst_prefetch 0x1
	s_branch .LBB0_172
	.p2align	6
.LBB0_171:                              ;   in Loop: Header=BB0_172 Depth=3
	s_or_b32 exec_lo, exec_lo, s41
	s_and_b32 s12, exec_lo, s12
	s_or_b32 s27, s12, s27
	s_andn2_b32 s12, s26, exec_lo
	s_and_b32 s26, s28, exec_lo
	s_or_b32 s26, s12, s26
	s_andn2_b32 exec_lo, exec_lo, s27
	s_cbranch_execz .LBB0_176
.LBB0_172:                              ;   Parent Loop BB0_70 Depth=1
                                        ;     Parent Loop BB0_168 Depth=2
                                        ; =>    This Inner Loop Header: Depth=3
	global_load_dwordx4 v[10:13], v[69:70], off slc
	s_add_i32 s29, s29, 1
	s_mov_b32 s12, -1
	s_cmpk_lg_i32 s29, 0x2710
	s_mov_b32 s40, -1
                                        ; implicit-def: $vgpr112
	s_cbranch_scc0 .LBB0_174
; %bb.173:                              ;   in Loop: Header=BB0_172 Depth=3
	s_or_b32 s28, s28, exec_lo
	s_and_saveexec_b32 s41, s40
	s_cbranch_execz .LBB0_171
	s_branch .LBB0_175
	.p2align	6
.LBB0_174:                              ;   in Loop: Header=BB0_172 Depth=3
	s_trap 2
	ds_read_b64 v[112:113], v0
	s_mov_b32 s29, 0
	s_waitcnt vmcnt(0) lgkmcnt(0)
	s_waitcnt_vscnt null, 0x0
	flat_load_dword v112, v[112:113] glc dlc
	s_waitcnt vmcnt(0) lgkmcnt(0)
	buffer_gl1_inv
	buffer_gl0_inv
	v_cmp_eq_u32_e32 vcc_lo, 0, v112
	s_orn2_b32 s40, vcc_lo, exec_lo
	s_or_b32 s28, s28, exec_lo
	s_and_saveexec_b32 s41, s40
	s_cbranch_execz .LBB0_171
.LBB0_175:                              ;   in Loop: Header=BB0_172 Depth=3
	s_waitcnt vmcnt(0)
	v_cmp_eq_u32_e32 vcc_lo, v71, v11
	v_cmp_eq_u32_e64 s12, v71, v13
	s_andn2_b32 s28, s28, exec_lo
	s_and_b32 s12, vcc_lo, s12
	s_orn2_b32 s12, s12, exec_lo
	s_branch .LBB0_171
.LBB0_176:                              ;   in Loop: Header=BB0_168 Depth=2
	s_inst_prefetch 0x2
	s_or_b32 exec_lo, exec_lo, s27
	v_mov_b32_e32 v103, 0
	s_and_saveexec_b32 s12, s26
	s_xor_b32 s12, exec_lo, s12
	s_cbranch_execz .LBB0_178
; %bb.177:                              ;   in Loop: Header=BB0_168 Depth=2
	v_mov_b32_e32 v103, 1
	s_waitcnt vmcnt(0) lgkmcnt(0)
	s_waitcnt_vscnt null, 0x0
	ds_write_b32 v0, v112
	s_trap 2
.LBB0_178:                              ;   in Loop: Header=BB0_168 Depth=2
	s_or_b32 exec_lo, exec_lo, s12
.LBB0_179:                              ;   in Loop: Header=BB0_168 Depth=2
	s_or_b32 exec_lo, exec_lo, s25
.LBB0_180:                              ;   in Loop: Header=BB0_168 Depth=2
	s_or_b32 exec_lo, exec_lo, s24
	v_cmp_lt_u32_e32 vcc_lo, 7, v38
	s_mov_b32 s12, -1
	s_cmp_lg_u32 vcc_lo, exec_lo
	s_cbranch_scc0 .LBB0_196
; %bb.181:                              ;   in Loop: Header=BB0_168 Depth=2
	s_mov_b32 s24, exec_lo
	s_waitcnt vmcnt(0)
	flat_store_byte v[66:67], v10
	v_cmpx_ne_u32_e32 1, v38
	s_cbranch_execz .LBB0_183
; %bb.182:                              ;   in Loop: Header=BB0_168 Depth=2
	v_lshrrev_b32_e32 v11, 8, v10
	flat_store_byte v[66:67], v11 offset:1
.LBB0_183:                              ;   in Loop: Header=BB0_168 Depth=2
	s_or_b32 exec_lo, exec_lo, s24
	s_mov_b32 s24, exec_lo
	v_cmpx_lt_u32_e32 2, v38
	s_cbranch_execz .LBB0_185
; %bb.184:                              ;   in Loop: Header=BB0_168 Depth=2
	flat_store_byte_d16_hi v[66:67], v10 offset:2
.LBB0_185:                              ;   in Loop: Header=BB0_168 Depth=2
	s_or_b32 exec_lo, exec_lo, s24
	s_mov_b32 s24, exec_lo
	v_cmpx_lt_u32_e32 3, v38
	s_cbranch_execz .LBB0_187
; %bb.186:                              ;   in Loop: Header=BB0_168 Depth=2
	v_lshrrev_b32_e32 v11, 24, v10
	flat_store_byte v[66:67], v11 offset:3
.LBB0_187:                              ;   in Loop: Header=BB0_168 Depth=2
	s_or_b32 exec_lo, exec_lo, s24
	s_mov_b32 s24, exec_lo
	v_cmpx_lt_u32_e32 4, v38
	s_cbranch_execz .LBB0_189
; %bb.188:                              ;   in Loop: Header=BB0_168 Depth=2
	flat_store_byte v[66:67], v12 offset:4
.LBB0_189:                              ;   in Loop: Header=BB0_168 Depth=2
	s_or_b32 exec_lo, exec_lo, s24
	s_mov_b32 s24, exec_lo
	v_cmpx_lt_u32_e32 5, v38
	s_cbranch_execz .LBB0_191
; %bb.190:                              ;   in Loop: Header=BB0_168 Depth=2
	v_lshrrev_b32_e32 v11, 8, v12
	flat_store_byte v[66:67], v11 offset:5
.LBB0_191:                              ;   in Loop: Header=BB0_168 Depth=2
	s_or_b32 exec_lo, exec_lo, s24
	s_mov_b32 s24, exec_lo
	v_cmpx_lt_u32_e32 6, v38
	s_cbranch_execz .LBB0_193
; %bb.192:                              ;   in Loop: Header=BB0_168 Depth=2
	flat_store_byte_d16_hi v[66:67], v12 offset:6
.LBB0_193:                              ;   in Loop: Header=BB0_168 Depth=2
	s_or_b32 exec_lo, exec_lo, s24
	s_and_saveexec_b32 s12, vcc_lo
	s_cbranch_execz .LBB0_195
; %bb.194:                              ;   in Loop: Header=BB0_168 Depth=2
	v_lshrrev_b32_e32 v11, 24, v12
	flat_store_byte v[66:67], v11 offset:7
.LBB0_195:                              ;   in Loop: Header=BB0_168 Depth=2
	s_or_b32 exec_lo, exec_lo, s12
	s_mov_b32 s12, 0
.LBB0_196:                              ;   in Loop: Header=BB0_168 Depth=2
	s_and_b32 vcc_lo, exec_lo, s12
	s_cbranch_vccz .LBB0_167
; %bb.197:                              ;   in Loop: Header=BB0_168 Depth=2
	s_waitcnt vmcnt(0)
	v_mov_b32_e32 v11, v12
	global_store_dwordx2 v[66:67], v[10:11], off
	s_branch .LBB0_167
.LBB0_198:                              ;   in Loop: Header=BB0_70 Depth=1
	s_or_b32 exec_lo, exec_lo, s23
	s_or_b32 exec_lo, exec_lo, s22
	s_and_saveexec_b32 s12, s9
	s_cbranch_execz .LBB0_109
.LBB0_199:                              ;   in Loop: Header=BB0_70 Depth=1
	s_and_saveexec_b32 s22, s18
	s_xor_b32 s22, exec_lo, s22
	s_cbranch_execz .LBB0_244
; %bb.200:                              ;   in Loop: Header=BB0_70 Depth=1
	s_and_saveexec_b32 s23, s11
	s_cbranch_execz .LBB0_243
; %bb.201:                              ;   in Loop: Header=BB0_70 Depth=1
	s_mov_b32 s25, exec_lo
	s_mov_b32 s24, exec_lo
	v_mbcnt_lo_u32_b32 v10, s25, 0
	s_waitcnt vmcnt(0) lgkmcnt(0)
	s_waitcnt_vscnt null, 0x0
	buffer_gl1_inv
	buffer_gl0_inv
	v_cmpx_eq_u32_e32 0, v10
	s_cbranch_execz .LBB0_203
; %bb.202:                              ;   in Loop: Header=BB0_70 Depth=1
	s_bcnt1_i32_b32 s25, s25
	v_mov_b32_e32 v38, s25
	ds_add_u64 v0, v[38:39]
	s_trap 2
.LBB0_203:                              ;   in Loop: Header=BB0_70 Depth=1
	s_or_b32 exec_lo, exec_lo, s24
	s_trap 2
	ds_read_b64 v[10:11], v0
	s_waitcnt lgkmcnt(0)
	buffer_gl0_inv
	v_add_co_u32 v36, vcc_lo, v36, v83
	v_add_co_ci_u32_e64 v37, null, 0, v37, vcc_lo
	s_mov_b32 s24, exec_lo
	v_cmpx_lt_u64_e64 v[10:11], v[36:37]
	s_cbranch_execz .LBB0_242
; %bb.204:                              ;   in Loop: Header=BB0_70 Depth=1
	s_mov_b32 s25, 0
	s_mov_b32 s28, 0
                                        ; implicit-def: $sgpr26
                                        ; implicit-def: $sgpr27
	s_inst_prefetch 0x1
	s_branch .LBB0_206
	.p2align	6
.LBB0_205:                              ;   in Loop: Header=BB0_206 Depth=2
	s_or_b32 exec_lo, exec_lo, s40
	s_and_b32 s29, exec_lo, s41
	s_or_b32 s25, s29, s25
	s_andn2_b32 s26, s26, exec_lo
	s_and_b32 s29, s27, exec_lo
	s_or_b32 s26, s26, s29
	s_andn2_b32 exec_lo, exec_lo, s25
	s_cbranch_execz .LBB0_240
.LBB0_206:                              ;   Parent Loop BB0_70 Depth=1
                                        ; =>  This Inner Loop Header: Depth=2
	s_add_i32 s28, s28, 1
	s_cmpk_lg_i32 s28, 0x2710
	s_cselect_b32 s29, -1, 0
	s_and_b32 vcc_lo, exec_lo, s29
	s_cbranch_vccz .LBB0_208
; %bb.207:                              ;   in Loop: Header=BB0_206 Depth=2
	s_mov_b32 s41, -1
	s_or_b32 s27, s27, exec_lo
	s_and_saveexec_b32 s40, s29
	s_cbranch_execz .LBB0_205
	s_branch .LBB0_209
	.p2align	6
.LBB0_208:                              ;   in Loop: Header=BB0_206 Depth=2
	s_trap 2
	ds_read_b64 v[10:11], v0
	s_andn2_b32 s29, s29, exec_lo
	s_mov_b32 s28, 0
	s_waitcnt lgkmcnt(0)
	flat_load_dword v10, v[10:11] glc dlc
	s_waitcnt vmcnt(0) lgkmcnt(0)
	buffer_gl1_inv
	buffer_gl0_inv
	v_cmp_eq_u32_e32 vcc_lo, 0, v10
	s_and_b32 s40, vcc_lo, exec_lo
	s_or_b32 s29, s29, s40
	s_mov_b32 s41, -1
	s_or_b32 s27, s27, exec_lo
	s_and_saveexec_b32 s40, s29
	s_cbranch_execz .LBB0_205
.LBB0_209:                              ;   in Loop: Header=BB0_206 Depth=2
	s_sleep 1
	s_trap 2
	ds_read_b64 v[10:11], v0
	s_waitcnt lgkmcnt(0)
	buffer_gl0_inv
	s_andn2_b32 s27, s27, exec_lo
	v_cmp_ge_u64_e32 vcc_lo, v[10:11], v[36:37]
	s_orn2_b32 s41, vcc_lo, exec_lo
	s_branch .LBB0_205
.LBB0_210:                              ;   in Loop: Header=BB0_70 Depth=1
	s_or_b32 exec_lo, exec_lo, s23
	s_or_b32 exec_lo, exec_lo, s22
	s_and_saveexec_b32 s12, s9
	s_cbranch_execz .LBB0_118
.LBB0_211:                              ;   in Loop: Header=BB0_70 Depth=1
	s_and_saveexec_b32 s22, s18
	s_xor_b32 s22, exec_lo, s22
	s_cbranch_execz .LBB0_251
; %bb.212:                              ;   in Loop: Header=BB0_70 Depth=1
	s_and_saveexec_b32 s23, s11
	s_cbranch_execz .LBB0_250
; %bb.213:                              ;   in Loop: Header=BB0_70 Depth=1
	s_mov_b32 s25, exec_lo
	s_mov_b32 s24, exec_lo
	s_waitcnt vmcnt(0)
	v_mbcnt_lo_u32_b32 v10, s25, 0
	s_waitcnt lgkmcnt(0)
	s_waitcnt_vscnt null, 0x0
	buffer_gl1_inv
	buffer_gl0_inv
	v_cmpx_eq_u32_e32 0, v10
	s_cbranch_execz .LBB0_215
; %bb.214:                              ;   in Loop: Header=BB0_70 Depth=1
	s_bcnt1_i32_b32 s25, s25
	v_mov_b32_e32 v38, s25
	ds_add_u64 v0, v[38:39]
	s_trap 2
.LBB0_215:                              ;   in Loop: Header=BB0_70 Depth=1
	s_or_b32 exec_lo, exec_lo, s24
	s_trap 2
	ds_read_b64 v[10:11], v0
	s_waitcnt lgkmcnt(0)
	buffer_gl0_inv
	v_add_co_u32 v36, vcc_lo, v36, v83
	v_add_co_ci_u32_e64 v37, null, 0, v37, vcc_lo
	s_mov_b32 s24, exec_lo
	v_cmpx_lt_u64_e64 v[10:11], v[36:37]
	s_cbranch_execz .LBB0_249
; %bb.216:                              ;   in Loop: Header=BB0_70 Depth=1
	s_mov_b32 s25, 0
	s_mov_b32 s28, 0
                                        ; implicit-def: $sgpr26
                                        ; implicit-def: $sgpr27
	s_inst_prefetch 0x1
	s_branch .LBB0_218
	.p2align	6
.LBB0_217:                              ;   in Loop: Header=BB0_218 Depth=2
	s_or_b32 exec_lo, exec_lo, s40
	s_and_b32 s29, exec_lo, s41
	s_or_b32 s25, s29, s25
	s_andn2_b32 s26, s26, exec_lo
	s_and_b32 s29, s27, exec_lo
	s_or_b32 s26, s26, s29
	s_andn2_b32 exec_lo, exec_lo, s25
	s_cbranch_execz .LBB0_247
.LBB0_218:                              ;   Parent Loop BB0_70 Depth=1
                                        ; =>  This Inner Loop Header: Depth=2
	s_add_i32 s28, s28, 1
	s_cmpk_lg_i32 s28, 0x2710
	s_cselect_b32 s29, -1, 0
	s_and_b32 vcc_lo, exec_lo, s29
	s_cbranch_vccz .LBB0_220
; %bb.219:                              ;   in Loop: Header=BB0_218 Depth=2
	s_mov_b32 s41, -1
	s_or_b32 s27, s27, exec_lo
	s_and_saveexec_b32 s40, s29
	s_cbranch_execz .LBB0_217
	s_branch .LBB0_221
	.p2align	6
.LBB0_220:                              ;   in Loop: Header=BB0_218 Depth=2
	s_trap 2
	ds_read_b64 v[10:11], v0
	s_andn2_b32 s29, s29, exec_lo
	s_mov_b32 s28, 0
	s_waitcnt lgkmcnt(0)
	flat_load_dword v10, v[10:11] glc dlc
	s_waitcnt vmcnt(0) lgkmcnt(0)
	buffer_gl1_inv
	buffer_gl0_inv
	v_cmp_eq_u32_e32 vcc_lo, 0, v10
	s_and_b32 s40, vcc_lo, exec_lo
	s_or_b32 s29, s29, s40
	s_mov_b32 s41, -1
	s_or_b32 s27, s27, exec_lo
	s_and_saveexec_b32 s40, s29
	s_cbranch_execz .LBB0_217
.LBB0_221:                              ;   in Loop: Header=BB0_218 Depth=2
	s_sleep 1
	s_trap 2
	ds_read_b64 v[10:11], v0
	s_waitcnt lgkmcnt(0)
	buffer_gl0_inv
	s_andn2_b32 s27, s27, exec_lo
	v_cmp_ge_u64_e32 vcc_lo, v[10:11], v[36:37]
	s_orn2_b32 s41, vcc_lo, exec_lo
	s_branch .LBB0_217
.LBB0_222:                              ;   in Loop: Header=BB0_70 Depth=1
	s_or_b32 exec_lo, exec_lo, s24
	s_xor_b32 s12, s25, -1
	s_and_saveexec_b32 s24, s12
	s_xor_b32 s12, exec_lo, s24
	s_cbranch_execz .LBB0_224
; %bb.223:                              ;   in Loop: Header=BB0_70 Depth=1
	v_mov_b32_e32 v103, 1
	s_waitcnt vmcnt(0) lgkmcnt(0)
	s_waitcnt_vscnt null, 0x0
	ds_write_b32 v0, v9
	s_trap 2
.LBB0_224:                              ;   in Loop: Header=BB0_70 Depth=1
	s_or_b32 exec_lo, exec_lo, s12
.LBB0_225:                              ;   in Loop: Header=BB0_70 Depth=1
	s_or_b32 exec_lo, exec_lo, s23
	s_and_saveexec_b32 s12, s8
	s_cbranch_execz .LBB0_227
; %bb.226:                              ;   in Loop: Header=BB0_70 Depth=1
	v_and_b32_e32 v38, 0x7ffffff8, v8
	v_cmp_eq_u64_e32 vcc_lo, 0x7ffffff8, v[38:39]
	v_cndmask_b32_e64 v9, v13, s19, vcc_lo
	v_and_b32_e32 v13, 7, v8
	v_lshlrev_b32_e32 v8, 4, v9
	v_mad_u64_u32 v[66:67], null, v13, 24, v[6:7]
	v_ashrrev_i32_e32 v9, 31, v8
	flat_store_dwordx2 v[66:67], v[8:9] offset:8
	s_waitcnt_vscnt null, 0x0
.LBB0_227:                              ;   in Loop: Header=BB0_70 Depth=1
	s_or_b32 exec_lo, exec_lo, s12
	v_mov_b32_e32 v8, v10
	v_mov_b32_e32 v9, v11
.LBB0_228:                              ;   in Loop: Header=BB0_70 Depth=1
	s_or_b32 exec_lo, exec_lo, s22
	s_and_saveexec_b32 s12, s9
	s_cbranch_execz .LBB0_261
; %bb.229:                              ;   in Loop: Header=BB0_70 Depth=1
	s_and_saveexec_b32 s22, s18
	s_xor_b32 s22, exec_lo, s22
	s_cbranch_execz .LBB0_258
; %bb.230:                              ;   in Loop: Header=BB0_70 Depth=1
	s_and_saveexec_b32 s23, s11
	s_cbranch_execz .LBB0_257
; %bb.231:                              ;   in Loop: Header=BB0_70 Depth=1
	s_mov_b32 s25, exec_lo
	s_mov_b32 s24, exec_lo
	v_mbcnt_lo_u32_b32 v10, s25, 0
	s_waitcnt vmcnt(0) lgkmcnt(0)
	s_waitcnt_vscnt null, 0x0
	buffer_gl1_inv
	buffer_gl0_inv
	v_cmpx_eq_u32_e32 0, v10
	s_cbranch_execz .LBB0_233
; %bb.232:                              ;   in Loop: Header=BB0_70 Depth=1
	s_bcnt1_i32_b32 s25, s25
	v_mov_b32_e32 v38, s25
	ds_add_u64 v0, v[38:39]
	s_trap 2
.LBB0_233:                              ;   in Loop: Header=BB0_70 Depth=1
	s_or_b32 exec_lo, exec_lo, s24
	s_trap 2
	ds_read_b64 v[10:11], v0
	s_waitcnt lgkmcnt(0)
	buffer_gl0_inv
	v_add_co_u32 v36, vcc_lo, v36, v83
	v_add_co_ci_u32_e64 v37, null, 0, v37, vcc_lo
	s_mov_b32 s24, exec_lo
	v_cmpx_lt_u64_e64 v[10:11], v[36:37]
	s_cbranch_execz .LBB0_256
; %bb.234:                              ;   in Loop: Header=BB0_70 Depth=1
	s_mov_b32 s25, 0
	s_mov_b32 s28, 0
                                        ; implicit-def: $sgpr26
                                        ; implicit-def: $sgpr27
	s_inst_prefetch 0x1
	s_branch .LBB0_236
	.p2align	6
.LBB0_235:                              ;   in Loop: Header=BB0_236 Depth=2
	s_or_b32 exec_lo, exec_lo, s40
	s_and_b32 s29, exec_lo, s41
	s_or_b32 s25, s29, s25
	s_andn2_b32 s26, s26, exec_lo
	s_and_b32 s29, s27, exec_lo
	s_or_b32 s26, s26, s29
	s_andn2_b32 exec_lo, exec_lo, s25
	s_cbranch_execz .LBB0_254
.LBB0_236:                              ;   Parent Loop BB0_70 Depth=1
                                        ; =>  This Inner Loop Header: Depth=2
	s_add_i32 s28, s28, 1
	s_cmpk_lg_i32 s28, 0x2710
	s_cselect_b32 s29, -1, 0
	s_and_b32 vcc_lo, exec_lo, s29
	s_cbranch_vccz .LBB0_238
; %bb.237:                              ;   in Loop: Header=BB0_236 Depth=2
	s_mov_b32 s41, -1
	s_or_b32 s27, s27, exec_lo
	s_and_saveexec_b32 s40, s29
	s_cbranch_execz .LBB0_235
	s_branch .LBB0_239
	.p2align	6
.LBB0_238:                              ;   in Loop: Header=BB0_236 Depth=2
	s_trap 2
	ds_read_b64 v[10:11], v0
	s_andn2_b32 s29, s29, exec_lo
	s_mov_b32 s28, 0
	s_waitcnt lgkmcnt(0)
	flat_load_dword v10, v[10:11] glc dlc
	s_waitcnt vmcnt(0) lgkmcnt(0)
	buffer_gl1_inv
	buffer_gl0_inv
	v_cmp_eq_u32_e32 vcc_lo, 0, v10
	s_and_b32 s40, vcc_lo, exec_lo
	s_or_b32 s29, s29, s40
	s_mov_b32 s41, -1
	s_or_b32 s27, s27, exec_lo
	s_and_saveexec_b32 s40, s29
	s_cbranch_execz .LBB0_235
.LBB0_239:                              ;   in Loop: Header=BB0_236 Depth=2
	s_sleep 1
	s_trap 2
	ds_read_b64 v[10:11], v0
	s_waitcnt lgkmcnt(0)
	buffer_gl0_inv
	s_andn2_b32 s27, s27, exec_lo
	v_cmp_ge_u64_e32 vcc_lo, v[10:11], v[36:37]
	s_orn2_b32 s41, vcc_lo, exec_lo
	s_branch .LBB0_235
.LBB0_240:                              ;   in Loop: Header=BB0_70 Depth=1
	s_inst_prefetch 0x2
	s_or_b32 exec_lo, exec_lo, s25
	s_and_saveexec_b32 s25, s26
	s_xor_b32 s25, exec_lo, s25
	s_cbranch_execz .LBB0_242
; %bb.241:                              ;   in Loop: Header=BB0_70 Depth=1
	ds_write_b32 v0, v102
	s_trap 2
.LBB0_242:                              ;   in Loop: Header=BB0_70 Depth=1
	s_or_b32 exec_lo, exec_lo, s24
	;;#ASMSTART
	s_wakeup
	;;#ASMEND
.LBB0_243:                              ;   in Loop: Header=BB0_70 Depth=1
	s_or_b32 exec_lo, exec_lo, s23
.LBB0_244:                              ;   in Loop: Header=BB0_70 Depth=1
	s_andn2_saveexec_b32 s22, s22
	s_cbranch_execz .LBB0_246
; %bb.245:                              ;   in Loop: Header=BB0_70 Depth=1
	s_waitcnt vmcnt(0) lgkmcnt(0)
	s_waitcnt_vscnt null, 0x0
	buffer_gl1_inv
	buffer_gl0_inv
	s_barrier
.LBB0_246:                              ;   in Loop: Header=BB0_70 Depth=1
	s_or_b32 exec_lo, exec_lo, s22
	s_or_b32 exec_lo, exec_lo, s12
	s_and_saveexec_b32 s12, s10
	s_cbranch_execnz .LBB0_110
	s_branch .LBB0_111
.LBB0_247:                              ;   in Loop: Header=BB0_70 Depth=1
	s_inst_prefetch 0x2
	s_or_b32 exec_lo, exec_lo, s25
	s_and_saveexec_b32 s25, s26
	s_xor_b32 s25, exec_lo, s25
	s_cbranch_execz .LBB0_249
; %bb.248:                              ;   in Loop: Header=BB0_70 Depth=1
	ds_write_b32 v0, v102
	s_trap 2
.LBB0_249:                              ;   in Loop: Header=BB0_70 Depth=1
	s_or_b32 exec_lo, exec_lo, s24
	;;#ASMSTART
	s_wakeup
	;;#ASMEND
.LBB0_250:                              ;   in Loop: Header=BB0_70 Depth=1
	s_or_b32 exec_lo, exec_lo, s23
.LBB0_251:                              ;   in Loop: Header=BB0_70 Depth=1
	s_andn2_saveexec_b32 s22, s22
	s_cbranch_execz .LBB0_253
; %bb.252:                              ;   in Loop: Header=BB0_70 Depth=1
	s_waitcnt vmcnt(0) lgkmcnt(0)
	s_waitcnt_vscnt null, 0x0
	buffer_gl1_inv
	buffer_gl0_inv
	s_barrier
.LBB0_253:                              ;   in Loop: Header=BB0_70 Depth=1
	s_or_b32 exec_lo, exec_lo, s22
	s_or_b32 exec_lo, exec_lo, s12
	s_and_saveexec_b32 s12, s10
	s_cbranch_execnz .LBB0_119
	s_branch .LBB0_120
.LBB0_254:                              ;   in Loop: Header=BB0_70 Depth=1
	s_inst_prefetch 0x2
	s_or_b32 exec_lo, exec_lo, s25
	s_and_saveexec_b32 s25, s26
	s_xor_b32 s25, exec_lo, s25
	s_cbranch_execz .LBB0_256
; %bb.255:                              ;   in Loop: Header=BB0_70 Depth=1
	ds_write_b32 v0, v102
	s_trap 2
.LBB0_256:                              ;   in Loop: Header=BB0_70 Depth=1
	s_or_b32 exec_lo, exec_lo, s24
	;;#ASMSTART
	s_wakeup
	;;#ASMEND
.LBB0_257:                              ;   in Loop: Header=BB0_70 Depth=1
	s_or_b32 exec_lo, exec_lo, s23
.LBB0_258:                              ;   in Loop: Header=BB0_70 Depth=1
	s_andn2_saveexec_b32 s22, s22
	s_cbranch_execz .LBB0_260
; %bb.259:                              ;   in Loop: Header=BB0_70 Depth=1
	s_waitcnt vmcnt(0) lgkmcnt(0)
	s_waitcnt_vscnt null, 0x0
	buffer_gl1_inv
	buffer_gl0_inv
	s_barrier
.LBB0_260:                              ;   in Loop: Header=BB0_70 Depth=1
	s_or_b32 exec_lo, exec_lo, s22
.LBB0_261:                              ;   in Loop: Header=BB0_70 Depth=1
	s_or_b32 exec_lo, exec_lo, s12
	v_sub_nc_u32_e32 v71, v12, v84
	v_mov_b32_e32 v66, v0
	s_mov_b32 s22, exec_lo
	v_cmpx_lt_i32_e32 0, v71
	s_cbranch_execz .LBB0_287
; %bb.262:                              ;   in Loop: Header=BB0_70 Depth=1
	v_and_b32_e32 v10, 7, v26
	v_mov_b32_e32 v67, 0
	v_add_nc_u32_e32 v112, v3, v12
	v_mov_b32_e32 v68, 0
	v_mov_b32_e32 v113, v96
	v_mul_lo_u32 v10, v10, s19
	v_mov_b32_e32 v66, v0
	s_mov_b32 s23, 0
	v_ashrrev_i32_e32 v11, 31, v10
	v_lshlrev_b64 v[69:70], 4, v[10:11]
	v_add_nc_u32_e32 v11, 1, v26
	v_add_co_u32 v69, vcc_lo, v100, v69
	v_add_co_ci_u32_e64 v70, null, v101, v70, vcc_lo
	s_branch .LBB0_264
.LBB0_263:                              ;   in Loop: Header=BB0_264 Depth=2
	v_sub_nc_u32_e32 v71, v71, v85
	v_add_co_u32 v67, vcc_lo, v67, v85
	v_add_co_ci_u32_e64 v68, null, 0, v68, vcc_lo
	v_cmp_gt_i32_e32 vcc_lo, 1, v71
	v_add_co_u32 v69, s12, v69, v52
	v_add_nc_u32_e32 v66, v66, v2
	v_add_nc_u32_e32 v113, v113, v98
	v_add_co_ci_u32_e64 v70, null, v70, v53, s12
	s_or_b32 s23, vcc_lo, s23
	s_andn2_b32 exec_lo, exec_lo, s23
	s_cbranch_execz .LBB0_286
.LBB0_264:                              ;   Parent Loop BB0_70 Depth=1
                                        ; =>  This Inner Loop Header: Depth=2
	v_add_co_u32 v38, vcc_lo, v54, v67
	v_add_co_ci_u32_e64 v13, null, v55, v68, vcc_lo
	v_min_u32_e32 v80, 8, v71
	v_and_b32_e32 v12, -4, v38
	v_and_b32_e32 v38, 3, v38
	v_mov_b32_e32 v81, 0
	s_mov_b32 s12, exec_lo
	global_load_dword v10, v[12:13], off slc
	v_add_nc_u32_e32 v38, v38, v80
	v_mov_b32_e32 v80, 0
	v_cmpx_lt_u32_e32 4, v38
	s_cbranch_execz .LBB0_266
; %bb.265:                              ;   in Loop: Header=BB0_264 Depth=2
	global_load_dword v81, v[12:13], off offset:4 slc
.LBB0_266:                              ;   in Loop: Header=BB0_264 Depth=2
	s_or_b32 exec_lo, exec_lo, s12
	s_mov_b32 s12, exec_lo
	v_cmpx_lt_u64_e32 8, v[38:39]
	s_cbranch_execz .LBB0_268
; %bb.267:                              ;   in Loop: Header=BB0_264 Depth=2
	global_load_dword v80, v[12:13], off offset:8 slc
.LBB0_268:                              ;   in Loop: Header=BB0_264 Depth=2
	s_or_b32 exec_lo, exec_lo, s12
	s_waitcnt vmcnt(0)
	v_alignbit_b32 v12, v80, v81, v113
	v_cmp_lt_u32_e32 vcc_lo, 7, v71
	v_add_co_u32 v80, s12, v1, v67
	v_alignbit_b32 v10, v81, v10, v113
	v_mov_b32_e32 v13, v11
	v_add_co_ci_u32_e64 v81, null, v99, v68, s12
	s_cmp_lg_u32 vcc_lo, exec_lo
	s_mov_b32 s12, -1
	global_store_dwordx4 v[69:70], v[10:13], off
	s_cbranch_scc0 .LBB0_284
; %bb.269:                              ;   in Loop: Header=BB0_264 Depth=2
	s_mov_b32 s24, exec_lo
	flat_store_byte v[80:81], v10
	v_cmpx_ne_u32_e64 v112, v67
	s_cbranch_execz .LBB0_271
; %bb.270:                              ;   in Loop: Header=BB0_264 Depth=2
	v_lshrrev_b32_e32 v13, 8, v10
	flat_store_byte v[80:81], v13 offset:1
.LBB0_271:                              ;   in Loop: Header=BB0_264 Depth=2
	s_or_b32 exec_lo, exec_lo, s24
	s_mov_b32 s24, exec_lo
	v_cmpx_lt_u32_e32 2, v71
	s_cbranch_execz .LBB0_273
; %bb.272:                              ;   in Loop: Header=BB0_264 Depth=2
	flat_store_byte_d16_hi v[80:81], v10 offset:2
.LBB0_273:                              ;   in Loop: Header=BB0_264 Depth=2
	s_or_b32 exec_lo, exec_lo, s24
	s_mov_b32 s24, exec_lo
	v_cmpx_lt_u32_e32 3, v71
	s_cbranch_execz .LBB0_275
; %bb.274:                              ;   in Loop: Header=BB0_264 Depth=2
	v_lshrrev_b32_e32 v13, 24, v10
	flat_store_byte v[80:81], v13 offset:3
.LBB0_275:                              ;   in Loop: Header=BB0_264 Depth=2
	s_or_b32 exec_lo, exec_lo, s24
	s_mov_b32 s24, exec_lo
	v_cmpx_lt_u32_e32 4, v71
	s_cbranch_execz .LBB0_277
; %bb.276:                              ;   in Loop: Header=BB0_264 Depth=2
	flat_store_byte v[80:81], v12 offset:4
.LBB0_277:                              ;   in Loop: Header=BB0_264 Depth=2
	s_or_b32 exec_lo, exec_lo, s24
	s_mov_b32 s24, exec_lo
	v_cmpx_lt_u32_e32 5, v71
	s_cbranch_execz .LBB0_279
; %bb.278:                              ;   in Loop: Header=BB0_264 Depth=2
	v_lshrrev_b32_e32 v13, 8, v12
	flat_store_byte v[80:81], v13 offset:5
.LBB0_279:                              ;   in Loop: Header=BB0_264 Depth=2
	s_or_b32 exec_lo, exec_lo, s24
	s_mov_b32 s24, exec_lo
	v_cmpx_lt_u32_e32 6, v71
	s_cbranch_execz .LBB0_281
; %bb.280:                              ;   in Loop: Header=BB0_264 Depth=2
	flat_store_byte_d16_hi v[80:81], v12 offset:6
.LBB0_281:                              ;   in Loop: Header=BB0_264 Depth=2
	s_or_b32 exec_lo, exec_lo, s24
	s_and_saveexec_b32 s12, vcc_lo
	s_cbranch_execz .LBB0_283
; %bb.282:                              ;   in Loop: Header=BB0_264 Depth=2
	v_lshrrev_b32_e32 v13, 24, v12
	flat_store_byte v[80:81], v13 offset:7
.LBB0_283:                              ;   in Loop: Header=BB0_264 Depth=2
	s_or_b32 exec_lo, exec_lo, s12
	s_mov_b32 s12, 0
.LBB0_284:                              ;   in Loop: Header=BB0_264 Depth=2
	s_and_b32 vcc_lo, exec_lo, s12
	s_cbranch_vccz .LBB0_263
; %bb.285:                              ;   in Loop: Header=BB0_264 Depth=2
	v_mov_b32_e32 v114, v10
	v_mov_b32_e32 v115, v12
	global_store_dwordx2 v[80:81], v[114:115], off
	s_branch .LBB0_263
.LBB0_286:                              ;   in Loop: Header=BB0_70 Depth=1
	s_or_b32 exec_lo, exec_lo, s23
.LBB0_287:                              ;   in Loop: Header=BB0_70 Depth=1
	s_or_b32 exec_lo, exec_lo, s22
	v_and_b32_e32 v38, 0x7ffffff8, v26
	v_cmp_gt_i32_e64 s12, s19, v66
	v_cmp_eq_u64_e32 vcc_lo, 0x7ffffff8, v[38:39]
	s_and_b32 s12, vcc_lo, s12
	s_and_saveexec_b32 s22, s12
	s_cbranch_execz .LBB0_290
; %bb.288:                              ;   in Loop: Header=BB0_70 Depth=1
	v_and_b32_e32 v10, 7, v26
	v_ashrrev_i32_e32 v67, 31, v66
	s_mov_b32 s23, 0
	v_mul_lo_u32 v10, v10, s19
	v_lshlrev_b64 v[12:13], 4, v[66:67]
	v_ashrrev_i32_e32 v11, 31, v10
	v_lshlrev_b64 v[67:68], 4, v[10:11]
	v_add_nc_u32_e32 v11, 1, v26
	v_mov_b32_e32 v10, v39
	v_add_co_u32 v12, vcc_lo, v12, v67
	v_add_co_ci_u32_e64 v13, null, v13, v68, vcc_lo
	v_add_co_u32 v67, vcc_lo, v24, v12
	v_add_co_ci_u32_e64 v68, null, v25, v13, vcc_lo
.LBB0_289:                              ;   Parent Loop BB0_70 Depth=1
                                        ; =>  This Inner Loop Header: Depth=2
	v_mov_b32_e32 v12, v10
	v_add_nc_u32_e32 v66, v66, v2
	v_mov_b32_e32 v13, v11
	v_cmp_le_i32_e32 vcc_lo, s19, v66
	global_store_dwordx4 v[67:68], v[10:13], off
	v_add_co_u32 v67, s12, v67, v52
	v_add_co_ci_u32_e64 v68, null, v68, v53, s12
	s_or_b32 s23, vcc_lo, s23
	s_andn2_b32 exec_lo, exec_lo, s23
	s_cbranch_execnz .LBB0_289
.LBB0_290:                              ;   in Loop: Header=BB0_70 Depth=1
	s_or_b32 exec_lo, exec_lo, s22
	v_add_co_u32 v26, vcc_lo, v26, 1
	v_add_co_ci_u32_e64 v27, null, 0, v27, vcc_lo
                                        ; implicit-def: $vgpr12
                                        ; implicit-def: $vgpr13
.LBB0_291:                              ;   in Loop: Header=BB0_70 Depth=1
	s_andn2_saveexec_b32 s21, s21
	s_cbranch_execz .LBB0_68
; %bb.292:                              ;   in Loop: Header=BB0_70 Depth=1
	s_and_saveexec_b32 s22, s7
	s_cbranch_execz .LBB0_308
; %bb.293:                              ;   in Loop: Header=BB0_70 Depth=1
	v_add_co_u32 v10, vcc_lo, v8, 1
	v_add_co_ci_u32_e64 v11, null, 0, v9, vcc_lo
	s_waitcnt vmcnt(0) lgkmcnt(0)
	v_add_co_u32 v66, vcc_lo, v50, 8
	v_add_co_ci_u32_e64 v67, null, 0, v51, vcc_lo
	s_mov_b32 s23, exec_lo
	v_cmpx_lt_u64_e64 v[66:67], v[10:11]
	s_cbranch_execz .LBB0_305
; %bb.294:                              ;   in Loop: Header=BB0_70 Depth=1
	s_mov_b32 s24, 0
	s_mov_b32 s28, 0
	v_cmp_eq_u32_e32 vcc_lo, 0, v103
                                        ; implicit-def: $sgpr25
                                        ; implicit-def: $sgpr26
                                        ; implicit-def: $sgpr27
	s_branch .LBB0_297
.LBB0_295:                              ;   in Loop: Header=BB0_297 Depth=2
	s_or_b32 exec_lo, exec_lo, s43
	s_andn2_b32 s12, s27, exec_lo
	s_and_b32 s27, s41, exec_lo
	s_andn2_b32 s26, s26, exec_lo
	s_and_b32 s40, s40, exec_lo
	s_or_b32 s27, s12, s27
	s_or_b32 s26, s26, s40
.LBB0_296:                              ;   in Loop: Header=BB0_297 Depth=2
	s_or_b32 exec_lo, exec_lo, s29
	s_and_b32 s12, exec_lo, s26
	s_or_b32 s24, s12, s24
	s_andn2_b32 s12, s25, exec_lo
	s_and_b32 s25, s27, exec_lo
	s_or_b32 s25, s12, s25
	s_andn2_b32 exec_lo, exec_lo, s24
	s_cbranch_execz .LBB0_302
.LBB0_297:                              ;   Parent Loop BB0_70 Depth=1
                                        ; =>  This Inner Loop Header: Depth=2
	s_sleep 1
	s_waitcnt vmcnt(0) lgkmcnt(0)
	flat_load_dwordx2 v[50:51], v[34:35] glc dlc
	v_mov_b32_e32 v103, 1
	s_or_b32 s27, s27, exec_lo
	s_or_b32 s26, s26, exec_lo
                                        ; implicit-def: $vgpr9
	s_and_saveexec_b32 s29, vcc_lo
	s_cbranch_execz .LBB0_296
; %bb.298:                              ;   in Loop: Header=BB0_297 Depth=2
	s_add_i32 s28, s28, 1
	s_mov_b32 s40, -1
	s_cmpk_lg_i32 s28, 0x2710
	s_mov_b32 s41, -1
	s_cselect_b32 s42, -1, 0
	s_cmpk_eq_i32 s28, 0x2710
                                        ; implicit-def: $vgpr9
	s_cbranch_scc1 .LBB0_300
; %bb.299:                              ;   in Loop: Header=BB0_297 Depth=2
	v_mov_b32_e32 v103, 1
	s_and_saveexec_b32 s43, s42
	s_cbranch_execz .LBB0_295
	s_branch .LBB0_301
.LBB0_300:                              ;   in Loop: Header=BB0_297 Depth=2
	s_trap 2
	ds_read_b64 v[66:67], v0
	s_andn2_b32 s28, s42, exec_lo
	s_mov_b32 s41, 0
	s_waitcnt vmcnt(0) lgkmcnt(0)
	s_waitcnt_vscnt null, 0x0
	flat_load_dword v9, v[66:67] glc dlc
	s_waitcnt vmcnt(0) lgkmcnt(0)
	buffer_gl1_inv
	buffer_gl0_inv
	v_cmp_eq_u32_e64 s12, 0, v9
	s_and_b32 s12, s12, exec_lo
	s_or_b32 s42, s28, s12
	s_mov_b32 s28, 0
	v_mov_b32_e32 v103, 1
	s_and_saveexec_b32 s43, s42
	s_cbranch_execz .LBB0_295
.LBB0_301:                              ;   in Loop: Header=BB0_297 Depth=2
	s_waitcnt vmcnt(0) lgkmcnt(0)
	v_add_co_u32 v66, s12, v50, 8
	v_add_co_ci_u32_e64 v67, null, 0, v51, s12
	v_mov_b32_e32 v103, 0
	s_or_b32 s41, s41, exec_lo
	v_cmp_ge_u64_e64 s12, v[66:67], v[10:11]
	s_orn2_b32 s40, s12, exec_lo
	s_branch .LBB0_295
.LBB0_302:                              ;   in Loop: Header=BB0_70 Depth=1
	s_or_b32 exec_lo, exec_lo, s24
	s_xor_b32 s12, s25, -1
	s_and_saveexec_b32 s24, s12
	s_xor_b32 s12, exec_lo, s24
	s_cbranch_execz .LBB0_304
; %bb.303:                              ;   in Loop: Header=BB0_70 Depth=1
	v_mov_b32_e32 v103, 1
	s_waitcnt vmcnt(0) lgkmcnt(0)
	s_waitcnt_vscnt null, 0x0
	ds_write_b32 v0, v9
	s_trap 2
.LBB0_304:                              ;   in Loop: Header=BB0_70 Depth=1
	s_or_b32 exec_lo, exec_lo, s12
.LBB0_305:                              ;   in Loop: Header=BB0_70 Depth=1
	s_or_b32 exec_lo, exec_lo, s23
	s_and_saveexec_b32 s12, s8
	s_cbranch_execz .LBB0_307
; %bb.306:                              ;   in Loop: Header=BB0_70 Depth=1
	v_and_b32_e32 v38, 0x7ffffff8, v8
	v_cmp_eq_u64_e32 vcc_lo, 0x7ffffff8, v[38:39]
	v_cndmask_b32_e64 v9, v13, s19, vcc_lo
	v_and_b32_e32 v13, 7, v8
	v_lshlrev_b32_e32 v8, 4, v9
	v_mad_u64_u32 v[66:67], null, v13, 24, v[6:7]
	v_ashrrev_i32_e32 v9, 31, v8
	flat_store_dwordx2 v[66:67], v[8:9] offset:8
	s_waitcnt_vscnt null, 0x0
.LBB0_307:                              ;   in Loop: Header=BB0_70 Depth=1
	s_or_b32 exec_lo, exec_lo, s12
	v_mov_b32_e32 v8, v10
	v_mov_b32_e32 v9, v11
.LBB0_308:                              ;   in Loop: Header=BB0_70 Depth=1
	s_or_b32 exec_lo, exec_lo, s22
	s_and_saveexec_b32 s12, s9
	s_cbranch_execz .LBB0_327
; %bb.309:                              ;   in Loop: Header=BB0_70 Depth=1
	s_and_saveexec_b32 s22, s18
	s_xor_b32 s22, exec_lo, s22
	s_cbranch_execz .LBB0_324
; %bb.310:                              ;   in Loop: Header=BB0_70 Depth=1
	s_and_saveexec_b32 s23, s11
	s_cbranch_execz .LBB0_323
; %bb.311:                              ;   in Loop: Header=BB0_70 Depth=1
	s_mov_b32 s25, exec_lo
	s_mov_b32 s24, exec_lo
	v_mbcnt_lo_u32_b32 v10, s25, 0
	s_waitcnt vmcnt(0) lgkmcnt(0)
	s_waitcnt_vscnt null, 0x0
	buffer_gl1_inv
	buffer_gl0_inv
	v_cmpx_eq_u32_e32 0, v10
	s_cbranch_execz .LBB0_313
; %bb.312:                              ;   in Loop: Header=BB0_70 Depth=1
	s_bcnt1_i32_b32 s25, s25
	v_mov_b32_e32 v38, s25
	ds_add_u64 v0, v[38:39]
	s_trap 2
.LBB0_313:                              ;   in Loop: Header=BB0_70 Depth=1
	s_or_b32 exec_lo, exec_lo, s24
	s_trap 2
	ds_read_b64 v[10:11], v0
	s_waitcnt lgkmcnt(0)
	buffer_gl0_inv
	v_add_co_u32 v36, vcc_lo, v36, v83
	v_add_co_ci_u32_e64 v37, null, 0, v37, vcc_lo
	s_mov_b32 s24, exec_lo
	v_cmpx_lt_u64_e64 v[10:11], v[36:37]
	s_cbranch_execz .LBB0_322
; %bb.314:                              ;   in Loop: Header=BB0_70 Depth=1
	s_mov_b32 s25, 0
	s_mov_b32 s28, 0
                                        ; implicit-def: $sgpr26
                                        ; implicit-def: $sgpr27
	s_inst_prefetch 0x1
	s_branch .LBB0_316
	.p2align	6
.LBB0_315:                              ;   in Loop: Header=BB0_316 Depth=2
	s_or_b32 exec_lo, exec_lo, s40
	s_and_b32 s29, exec_lo, s41
	s_or_b32 s25, s29, s25
	s_andn2_b32 s26, s26, exec_lo
	s_and_b32 s29, s27, exec_lo
	s_or_b32 s26, s26, s29
	s_andn2_b32 exec_lo, exec_lo, s25
	s_cbranch_execz .LBB0_320
.LBB0_316:                              ;   Parent Loop BB0_70 Depth=1
                                        ; =>  This Inner Loop Header: Depth=2
	s_add_i32 s28, s28, 1
	s_cmpk_lg_i32 s28, 0x2710
	s_cselect_b32 s29, -1, 0
	s_and_b32 vcc_lo, exec_lo, s29
	s_cbranch_vccz .LBB0_318
; %bb.317:                              ;   in Loop: Header=BB0_316 Depth=2
	s_mov_b32 s41, -1
	s_or_b32 s27, s27, exec_lo
	s_and_saveexec_b32 s40, s29
	s_cbranch_execz .LBB0_315
	s_branch .LBB0_319
	.p2align	6
.LBB0_318:                              ;   in Loop: Header=BB0_316 Depth=2
	s_trap 2
	ds_read_b64 v[10:11], v0
	s_andn2_b32 s29, s29, exec_lo
	s_mov_b32 s28, 0
	s_waitcnt lgkmcnt(0)
	flat_load_dword v10, v[10:11] glc dlc
	s_waitcnt vmcnt(0) lgkmcnt(0)
	buffer_gl1_inv
	buffer_gl0_inv
	v_cmp_eq_u32_e32 vcc_lo, 0, v10
	s_and_b32 s40, vcc_lo, exec_lo
	s_or_b32 s29, s29, s40
	s_mov_b32 s41, -1
	s_or_b32 s27, s27, exec_lo
	s_and_saveexec_b32 s40, s29
	s_cbranch_execz .LBB0_315
.LBB0_319:                              ;   in Loop: Header=BB0_316 Depth=2
	s_sleep 1
	s_trap 2
	ds_read_b64 v[10:11], v0
	s_waitcnt lgkmcnt(0)
	buffer_gl0_inv
	s_andn2_b32 s27, s27, exec_lo
	v_cmp_ge_u64_e32 vcc_lo, v[10:11], v[36:37]
	s_orn2_b32 s41, vcc_lo, exec_lo
	s_branch .LBB0_315
.LBB0_320:                              ;   in Loop: Header=BB0_70 Depth=1
	s_inst_prefetch 0x2
	s_or_b32 exec_lo, exec_lo, s25
	s_and_saveexec_b32 s25, s26
	s_xor_b32 s25, exec_lo, s25
	s_cbranch_execz .LBB0_322
; %bb.321:                              ;   in Loop: Header=BB0_70 Depth=1
	ds_write_b32 v0, v102
	s_trap 2
.LBB0_322:                              ;   in Loop: Header=BB0_70 Depth=1
	s_or_b32 exec_lo, exec_lo, s24
	;;#ASMSTART
	s_wakeup
	;;#ASMEND
.LBB0_323:                              ;   in Loop: Header=BB0_70 Depth=1
	s_or_b32 exec_lo, exec_lo, s23
.LBB0_324:                              ;   in Loop: Header=BB0_70 Depth=1
	s_andn2_saveexec_b32 s22, s22
	s_cbranch_execz .LBB0_326
; %bb.325:                              ;   in Loop: Header=BB0_70 Depth=1
	s_waitcnt vmcnt(0) lgkmcnt(0)
	s_waitcnt_vscnt null, 0x0
	buffer_gl1_inv
	buffer_gl0_inv
	s_barrier
.LBB0_326:                              ;   in Loop: Header=BB0_70 Depth=1
	s_or_b32 exec_lo, exec_lo, s22
.LBB0_327:                              ;   in Loop: Header=BB0_70 Depth=1
	s_or_b32 exec_lo, exec_lo, s12
	v_sub_nc_u32_e32 v80, v12, v84
	v_and_b32_e32 v71, 7, v26
	v_add_nc_u32_e32 v11, 1, v26
	v_mov_b32_e32 v66, v0
	s_mov_b32 s22, exec_lo
	v_cmpx_lt_i32_e32 0, v80
	s_cbranch_execz .LBB0_335
; %bb.328:                              ;   in Loop: Header=BB0_70 Depth=1
	v_mul_lo_u32 v12, v71, s19
	v_mov_b32_e32 v68, v55
	v_mov_b32_e32 v81, v96
	;; [unrolled: 1-line block ×4, first 2 shown]
	s_mov_b32 s23, 0
	v_ashrrev_i32_e32 v13, 31, v12
	v_lshlrev_b64 v[12:13], 4, v[12:13]
	v_add_co_u32 v69, vcc_lo, v100, v12
	v_add_co_ci_u32_e64 v70, null, v101, v13, vcc_lo
	s_inst_prefetch 0x1
	s_branch .LBB0_330
	.p2align	6
.LBB0_329:                              ;   in Loop: Header=BB0_330 Depth=2
	s_or_b32 exec_lo, exec_lo, s12
	s_waitcnt vmcnt(0)
	v_alignbit_b32 v10, v113, v10, v81
	v_alignbit_b32 v12, v112, v113, v81
	v_mov_b32_e32 v13, v11
	v_sub_nc_u32_e32 v80, v80, v85
	v_add_co_u32 v67, vcc_lo, v67, v85
	v_add_co_ci_u32_e64 v68, null, 0, v68, vcc_lo
	global_store_dwordx4 v[69:70], v[10:13], off
	v_cmp_gt_i32_e32 vcc_lo, 1, v80
	v_add_co_u32 v69, s12, v69, v52
	v_add_nc_u32_e32 v66, v66, v2
	v_add_nc_u32_e32 v81, v81, v98
	v_add_co_ci_u32_e64 v70, null, v70, v53, s12
	s_or_b32 s23, vcc_lo, s23
	s_andn2_b32 exec_lo, exec_lo, s23
	s_cbranch_execz .LBB0_334
.LBB0_330:                              ;   Parent Loop BB0_70 Depth=1
                                        ; =>  This Inner Loop Header: Depth=2
	v_and_b32_e32 v12, -4, v67
	v_mov_b32_e32 v13, v68
	v_min_u32_e32 v38, 8, v80
	v_and_b32_e32 v112, 3, v67
	v_mov_b32_e32 v113, 0
	s_mov_b32 s12, exec_lo
	global_load_dword v10, v[12:13], off slc
	v_add_nc_u32_e32 v38, v112, v38
	v_mov_b32_e32 v112, 0
	v_cmpx_lt_u32_e32 4, v38
	s_cbranch_execz .LBB0_332
; %bb.331:                              ;   in Loop: Header=BB0_330 Depth=2
	global_load_dword v113, v[12:13], off offset:4 slc
.LBB0_332:                              ;   in Loop: Header=BB0_330 Depth=2
	s_or_b32 exec_lo, exec_lo, s12
	s_mov_b32 s12, exec_lo
	v_cmpx_lt_u64_e32 8, v[38:39]
	s_cbranch_execz .LBB0_329
; %bb.333:                              ;   in Loop: Header=BB0_330 Depth=2
	global_load_dword v112, v[12:13], off offset:8 slc
	s_branch .LBB0_329
.LBB0_334:                              ;   in Loop: Header=BB0_70 Depth=1
	s_inst_prefetch 0x2
	s_or_b32 exec_lo, exec_lo, s23
.LBB0_335:                              ;   in Loop: Header=BB0_70 Depth=1
	s_or_b32 exec_lo, exec_lo, s22
	v_and_b32_e32 v38, 0x7ffffff8, v26
	v_cmp_gt_i32_e64 s12, s19, v66
	v_cmp_eq_u64_e32 vcc_lo, 0x7ffffff8, v[38:39]
	s_and_b32 s12, vcc_lo, s12
	s_and_saveexec_b32 s22, s12
	s_cbranch_execz .LBB0_67
; %bb.336:                              ;   in Loop: Header=BB0_70 Depth=1
	v_mul_lo_u32 v12, v71, s19
	v_ashrrev_i32_e32 v67, 31, v66
	v_mov_b32_e32 v10, v39
	s_mov_b32 s23, 0
	v_lshlrev_b64 v[67:68], 4, v[66:67]
	v_ashrrev_i32_e32 v13, 31, v12
	v_lshlrev_b64 v[12:13], 4, v[12:13]
	v_add_co_u32 v12, vcc_lo, v67, v12
	v_add_co_ci_u32_e64 v13, null, v68, v13, vcc_lo
	v_add_co_u32 v67, vcc_lo, v24, v12
	v_add_co_ci_u32_e64 v68, null, v25, v13, vcc_lo
.LBB0_337:                              ;   Parent Loop BB0_70 Depth=1
                                        ; =>  This Inner Loop Header: Depth=2
	v_mov_b32_e32 v12, v10
	v_add_nc_u32_e32 v66, v66, v2
	v_mov_b32_e32 v13, v11
	v_cmp_le_i32_e32 vcc_lo, s19, v66
	global_store_dwordx4 v[67:68], v[10:13], off
	v_add_co_u32 v67, s12, v67, v52
	v_add_co_ci_u32_e64 v68, null, v68, v53, s12
	s_or_b32 s23, vcc_lo, s23
	s_andn2_b32 exec_lo, exec_lo, s23
	s_cbranch_execnz .LBB0_337
	s_branch .LBB0_67
.LBB0_338:
	s_or_b32 exec_lo, exec_lo, s13
	s_or_b32 exec_lo, exec_lo, s17
	s_and_saveexec_b32 s5, s16
	s_cbranch_execz .LBB0_52
.LBB0_339:
	s_waitcnt vmcnt(0) lgkmcnt(0)
	flat_store_dwordx2 v[18:19], v[28:29] offset:104
	s_or_b32 exec_lo, exec_lo, s5
	s_and_saveexec_b32 s5, s4
	s_cbranch_execnz .LBB0_53
	s_branch .LBB0_54
.LBB0_340:
	s_inst_prefetch 0x2
	s_or_b32 exec_lo, exec_lo, s8
	s_and_saveexec_b32 s8, s9
	s_xor_b32 s8, exec_lo, s8
	s_cbranch_execz .LBB0_342
; %bb.341:
	v_mov_b32_e32 v0, 1
	ds_write_b32 v0, v0
	s_trap 2
.LBB0_342:
	s_or_b32 exec_lo, exec_lo, s7
	;;#ASMSTART
	s_wakeup
	;;#ASMEND
.LBB0_343:
	s_or_b32 exec_lo, exec_lo, s6
.LBB0_344:
	s_andn2_saveexec_b32 s5, s5
	s_cbranch_execz .LBB0_346
; %bb.345:
	s_waitcnt lgkmcnt(0)
	s_waitcnt_vscnt null, 0x0
	buffer_gl1_inv
	buffer_gl0_inv
	s_barrier
.LBB0_346:
	s_or_b32 exec_lo, exec_lo, s4
	s_or_b32 exec_lo, exec_lo, s15
	s_waitcnt vmcnt(0) lgkmcnt(0)
	s_setpc_b64 s[30:31]
.Lfunc_end0:
	.size	_ZN12_GLOBAL__N_17runRingIa7FuncSumIaE7ProtoLLLi0ELi1ELi0EEEviiP15ncclDevWorkColl, .Lfunc_end0-_ZN12_GLOBAL__N_17runRingIa7FuncSumIaE7ProtoLLLi0ELi1ELi0EEEviiP15ncclDevWorkColl
                                        ; -- End function
	.set .L_ZN12_GLOBAL__N_17runRingIa7FuncSumIaE7ProtoLLLi0ELi1ELi0EEEviiP15ncclDevWorkColl.num_vgpr, 120
	.set .L_ZN12_GLOBAL__N_17runRingIa7FuncSumIaE7ProtoLLLi0ELi1ELi0EEEviiP15ncclDevWorkColl.num_agpr, 0
	.set .L_ZN12_GLOBAL__N_17runRingIa7FuncSumIaE7ProtoLLLi0ELi1ELi0EEEviiP15ncclDevWorkColl.numbered_sgpr, 44
	.set .L_ZN12_GLOBAL__N_17runRingIa7FuncSumIaE7ProtoLLLi0ELi1ELi0EEEviiP15ncclDevWorkColl.num_named_barrier, 0
	.set .L_ZN12_GLOBAL__N_17runRingIa7FuncSumIaE7ProtoLLLi0ELi1ELi0EEEviiP15ncclDevWorkColl.private_seg_size, 0
	.set .L_ZN12_GLOBAL__N_17runRingIa7FuncSumIaE7ProtoLLLi0ELi1ELi0EEEviiP15ncclDevWorkColl.uses_vcc, 1
	.set .L_ZN12_GLOBAL__N_17runRingIa7FuncSumIaE7ProtoLLLi0ELi1ELi0EEEviiP15ncclDevWorkColl.uses_flat_scratch, 1
	.set .L_ZN12_GLOBAL__N_17runRingIa7FuncSumIaE7ProtoLLLi0ELi1ELi0EEEviiP15ncclDevWorkColl.has_dyn_sized_stack, 0
	.set .L_ZN12_GLOBAL__N_17runRingIa7FuncSumIaE7ProtoLLLi0ELi1ELi0EEEviiP15ncclDevWorkColl.has_recursion, 0
	.set .L_ZN12_GLOBAL__N_17runRingIa7FuncSumIaE7ProtoLLLi0ELi1ELi0EEEviiP15ncclDevWorkColl.has_indirect_call, 0
	.section	.AMDGPU.csdata,"",@progbits
; Function info:
; codeLenInByte = 11716
; TotalNumSgprs: 46
; NumVgprs: 120
; ScratchSize: 0
; MemoryBound: 1
	.text
	.p2align	2                               ; -- Begin function _Z42ncclDevFunc_Broadcast_RING_LL_Sum_i8_0_0_1v
	.type	_Z42ncclDevFunc_Broadcast_RING_LL_Sum_i8_0_0_1v,@function
_Z42ncclDevFunc_Broadcast_RING_LL_Sum_i8_0_0_1v: ; @_Z42ncclDevFunc_Broadcast_RING_LL_Sum_i8_0_0_1v
; %bb.0:
	s_waitcnt vmcnt(0) expcnt(0) lgkmcnt(0)
	s_mov_b32 s57, s33
	s_mov_b32 s33, s32
	s_or_saveexec_b32 s4, -1
	buffer_store_dword v43, off, s[0:3], s33 offset:12 ; 4-byte Folded Spill
	s_mov_b32 exec_lo, s4
	s_addk_i32 s32, 0x400
	buffer_store_dword v40, off, s[0:3], s33 offset:8 ; 4-byte Folded Spill
	buffer_store_dword v41, off, s[0:3], s33 offset:4 ; 4-byte Folded Spill
	buffer_store_dword v42, off, s[0:3], s33 ; 4-byte Folded Spill
	v_writelane_b32 v43, s30, 0
	v_writelane_b32 v43, s31, 1
	s_trap 2
	ds_read_b32 v0, v0
	v_mov_b32_e32 v40, v31
	s_waitcnt lgkmcnt(0)
	v_cmp_gt_i32_e32 vcc_lo, 1, v0
	s_cbranch_vccnz .LBB1_8
; %bb.1:
	v_and_b32_e32 v41, 0x3ff, v40
	v_mov_b32_e32 v42, 5
	s_mov_b32 s46, s12
	s_mov_b64 s[44:45], s[8:9]
	s_mov_b32 s47, 0
	s_inst_prefetch 0x1
	s_branch .LBB1_3
	.p2align	6
.LBB1_2:                                ;   in Loop: Header=BB1_3 Depth=1
	s_or_b32 exec_lo, exec_lo, s56
	s_trap 2
	ds_read_b32 v0, v0
	s_add_i32 s47, s47, 1
	s_waitcnt lgkmcnt(0)
	v_cmp_lt_i32_e32 vcc_lo, s47, v0
	s_cbranch_vccz .LBB1_8
.LBB1_3:                                ; =>This Inner Loop Header: Depth=1
	s_trap 2
	ds_read_b32 v0, v0
	s_cmp_eq_u32 s47, 0
	s_cbranch_scc1 .LBB1_6
; %bb.4:                                ;   in Loop: Header=BB1_3 Depth=1
	s_trap 2
	s_waitcnt lgkmcnt(0)
	ds_read_b32 v1, v0
	s_waitcnt lgkmcnt(0)
	v_xor_b32_e32 v1, v1, v0
	v_and_b32_e32 v1, 0xff0000, v1
	v_cmp_eq_u32_e32 vcc_lo, 0, v1
	s_cbranch_vccnz .LBB1_6
; %bb.5:                                ;   in Loop: Header=BB1_3 Depth=1
	s_waitcnt_vscnt null, 0x0
	s_barrier
	buffer_gl0_inv
	ds_read_b32 v0, v0
.LBB1_6:                                ;   in Loop: Header=BB1_3 Depth=1
	s_waitcnt lgkmcnt(0)
	v_lshlrev_b32_sdwa v1, v42, v0 dst_sel:DWORD dst_unused:UNUSED_PAD src0_sel:DWORD src1_sel:BYTE_2
	s_mov_b32 s56, exec_lo
	v_cmpx_lt_u32_e64 v41, v1
	s_cbranch_execz .LBB1_2
; %bb.7:                                ;   in Loop: Header=BB1_3 Depth=1
	s_mov_b64 s[4:5], src_shared_base
	v_mov_b32_e32 v31, v40
	v_mov_b32_e32 v0, v41
	;; [unrolled: 1-line block ×3, first 2 shown]
	s_getpc_b64 s[6:7]
	s_add_u32 s6, s6, _ZN12_GLOBAL__N_17runRingIa7FuncSumIaE7ProtoLLLi0ELi1ELi0EEEviiP15ncclDevWorkColl@rel32@lo+4
	s_addc_u32 s7, s7, _ZN12_GLOBAL__N_17runRingIa7FuncSumIaE7ProtoLLLi0ELi1ELi0EEEviiP15ncclDevWorkColl@rel32@hi+12
	s_mov_b64 s[8:9], s[44:45]
	s_mov_b32 s12, s46
	s_swappc_b64 s[30:31], s[6:7]
	s_branch .LBB1_2
.LBB1_8:
	s_inst_prefetch 0x2
	s_clause 0x2
	buffer_load_dword v42, off, s[0:3], s33
	buffer_load_dword v41, off, s[0:3], s33 offset:4
	buffer_load_dword v40, off, s[0:3], s33 offset:8
	v_readlane_b32 s30, v43, 0
	v_readlane_b32 s31, v43, 1
	s_mov_b32 s32, s33
	s_or_saveexec_b32 s4, -1
	buffer_load_dword v43, off, s[0:3], s33 offset:12 ; 4-byte Folded Reload
	s_mov_b32 exec_lo, s4
	s_mov_b32 s33, s57
	s_waitcnt vmcnt(0)
	s_setpc_b64 s[30:31]
.Lfunc_end1:
	.size	_Z42ncclDevFunc_Broadcast_RING_LL_Sum_i8_0_0_1v, .Lfunc_end1-_Z42ncclDevFunc_Broadcast_RING_LL_Sum_i8_0_0_1v
                                        ; -- End function
	.set .L_Z42ncclDevFunc_Broadcast_RING_LL_Sum_i8_0_0_1v.num_vgpr, max(44, .L_ZN12_GLOBAL__N_17runRingIa7FuncSumIaE7ProtoLLLi0ELi1ELi0EEEviiP15ncclDevWorkColl.num_vgpr)
	.set .L_Z42ncclDevFunc_Broadcast_RING_LL_Sum_i8_0_0_1v.num_agpr, max(0, .L_ZN12_GLOBAL__N_17runRingIa7FuncSumIaE7ProtoLLLi0ELi1ELi0EEEviiP15ncclDevWorkColl.num_agpr)
	.set .L_Z42ncclDevFunc_Broadcast_RING_LL_Sum_i8_0_0_1v.numbered_sgpr, max(58, .L_ZN12_GLOBAL__N_17runRingIa7FuncSumIaE7ProtoLLLi0ELi1ELi0EEEviiP15ncclDevWorkColl.numbered_sgpr)
	.set .L_Z42ncclDevFunc_Broadcast_RING_LL_Sum_i8_0_0_1v.num_named_barrier, max(0, .L_ZN12_GLOBAL__N_17runRingIa7FuncSumIaE7ProtoLLLi0ELi1ELi0EEEviiP15ncclDevWorkColl.num_named_barrier)
	.set .L_Z42ncclDevFunc_Broadcast_RING_LL_Sum_i8_0_0_1v.private_seg_size, 32+max(.L_ZN12_GLOBAL__N_17runRingIa7FuncSumIaE7ProtoLLLi0ELi1ELi0EEEviiP15ncclDevWorkColl.private_seg_size)
	.set .L_Z42ncclDevFunc_Broadcast_RING_LL_Sum_i8_0_0_1v.uses_vcc, or(1, .L_ZN12_GLOBAL__N_17runRingIa7FuncSumIaE7ProtoLLLi0ELi1ELi0EEEviiP15ncclDevWorkColl.uses_vcc)
	.set .L_Z42ncclDevFunc_Broadcast_RING_LL_Sum_i8_0_0_1v.uses_flat_scratch, or(0, .L_ZN12_GLOBAL__N_17runRingIa7FuncSumIaE7ProtoLLLi0ELi1ELi0EEEviiP15ncclDevWorkColl.uses_flat_scratch)
	.set .L_Z42ncclDevFunc_Broadcast_RING_LL_Sum_i8_0_0_1v.has_dyn_sized_stack, or(0, .L_ZN12_GLOBAL__N_17runRingIa7FuncSumIaE7ProtoLLLi0ELi1ELi0EEEviiP15ncclDevWorkColl.has_dyn_sized_stack)
	.set .L_Z42ncclDevFunc_Broadcast_RING_LL_Sum_i8_0_0_1v.has_recursion, or(1, .L_ZN12_GLOBAL__N_17runRingIa7FuncSumIaE7ProtoLLLi0ELi1ELi0EEEviiP15ncclDevWorkColl.has_recursion)
	.set .L_Z42ncclDevFunc_Broadcast_RING_LL_Sum_i8_0_0_1v.has_indirect_call, or(0, .L_ZN12_GLOBAL__N_17runRingIa7FuncSumIaE7ProtoLLLi0ELi1ELi0EEEviiP15ncclDevWorkColl.has_indirect_call)
	.section	.AMDGPU.csdata,"",@progbits
; Function info:
; codeLenInByte = 468
; TotalNumSgprs: 60
; NumVgprs: 120
; ScratchSize: 32
; MemoryBound: 0
	.text
	.p2align	2                               ; -- Begin function __ockl_fprintf_append_string_n
	.type	__ockl_fprintf_append_string_n,@function
__ockl_fprintf_append_string_n:         ; @__ockl_fprintf_append_string_n
; %bb.0:
	s_waitcnt vmcnt(0) expcnt(0) lgkmcnt(0)
	v_or_b32_e32 v2, 2, v0
	v_cmp_eq_u32_e32 vcc_lo, 0, v6
	v_mbcnt_lo_u32_b32 v35, -1, 0
	s_getpc_b64 s[4:5]
	s_add_u32 s4, s4, .str.4@rel32@lo+4
	s_addc_u32 s5, s5, .str.4@rel32@hi+12
	s_mov_b32 s14, 0
	s_cmp_lg_u64 s[4:5], 0
	v_cndmask_b32_e32 v34, v2, v0, vcc_lo
	s_cbranch_scc0 .LBB2_113
; %bb.1:
	s_load_dwordx2 s[6:7], s[8:9], 0x50
	v_and_b32_e32 v0, -3, v34
	s_getpc_b64 s[4:5]
	s_add_u32 s4, s4, .str.4@rel32@lo+4
	s_addc_u32 s5, s5, .str.4@rel32@hi+12
	v_mov_b32_e32 v11, v1
	v_mov_b32_e32 v2, s4
	v_and_b32_e32 v36, 2, v34
	v_mov_b32_e32 v7, 0
	v_mov_b32_e32 v3, s5
	;; [unrolled: 1-line block ×5, first 2 shown]
	s_mov_b32 s15, 0
	s_branch .LBB2_3
.LBB2_2:                                ;   in Loop: Header=BB2_3 Depth=1
	s_or_b32 exec_lo, exec_lo, s12
	v_sub_co_u32 v4, vcc_lo, v4, v30
	v_sub_co_ci_u32_e64 v5, null, v5, v31, vcc_lo
	v_add_co_u32 v2, s4, v2, v30
	v_add_co_ci_u32_e64 v3, null, v3, v31, s4
	v_cmp_eq_u64_e32 vcc_lo, 0, v[4:5]
	s_or_b32 s15, vcc_lo, s15
	s_andn2_b32 exec_lo, exec_lo, s15
	s_cbranch_execz .LBB2_85
.LBB2_3:                                ; =>This Loop Header: Depth=1
                                        ;     Child Loop BB2_6 Depth 2
                                        ;     Child Loop BB2_14 Depth 2
	;; [unrolled: 1-line block ×11, first 2 shown]
	v_cmp_gt_u64_e32 vcc_lo, 56, v[4:5]
	s_mov_b32 s5, exec_lo
	v_cndmask_b32_e32 v31, 0, v5, vcc_lo
	v_cndmask_b32_e32 v30, 56, v4, vcc_lo
	v_add_co_u32 v16, vcc_lo, v2, 8
	v_add_co_ci_u32_e64 v17, null, 0, v3, vcc_lo
	v_cmpx_gt_u64_e32 8, v[4:5]
	s_xor_b32 s5, exec_lo, s5
	s_cbranch_execz .LBB2_9
; %bb.4:                                ;   in Loop: Header=BB2_3 Depth=1
	s_waitcnt vmcnt(0)
	v_mov_b32_e32 v12, 0
	v_mov_b32_e32 v13, 0
	s_mov_b32 s12, exec_lo
	v_cmpx_ne_u64_e32 0, v[4:5]
	s_cbranch_execz .LBB2_8
; %bb.5:                                ;   in Loop: Header=BB2_3 Depth=1
	v_lshlrev_b64 v[14:15], 3, v[30:31]
	v_mov_b32_e32 v12, 0
	v_mov_b32_e32 v16, v3
	;; [unrolled: 1-line block ×4, first 2 shown]
	s_mov_b64 s[10:11], 0
	s_mov_b32 s13, 0
	.p2align	6
.LBB2_6:                                ;   Parent Loop BB2_3 Depth=1
                                        ; =>  This Inner Loop Header: Depth=2
	global_load_ubyte v0, v[15:16], off
	v_mov_b32_e32 v18, s14
	v_add_co_u32 v15, vcc_lo, v15, 1
	v_add_co_ci_u32_e64 v16, null, 0, v16, vcc_lo
	s_waitcnt vmcnt(0)
	v_and_b32_e32 v17, 0xffff, v0
	v_lshlrev_b64 v[17:18], s10, v[17:18]
	s_add_u32 s10, s10, 8
	s_addc_u32 s11, s11, 0
	v_cmp_eq_u32_e64 s4, s10, v14
	v_or_b32_e32 v13, v18, v13
	v_or_b32_e32 v12, v17, v12
	s_or_b32 s13, s4, s13
	s_andn2_b32 exec_lo, exec_lo, s13
	s_cbranch_execnz .LBB2_6
; %bb.7:                                ;   in Loop: Header=BB2_3 Depth=1
	s_or_b32 exec_lo, exec_lo, s13
.LBB2_8:                                ;   in Loop: Header=BB2_3 Depth=1
	s_or_b32 exec_lo, exec_lo, s12
	v_mov_b32_e32 v17, v3
	v_mov_b32_e32 v16, v2
.LBB2_9:                                ;   in Loop: Header=BB2_3 Depth=1
	s_or_saveexec_b32 s4, s5
	v_mov_b32_e32 v0, 0
	s_xor_b32 exec_lo, exec_lo, s4
	s_cbranch_execz .LBB2_11
; %bb.10:                               ;   in Loop: Header=BB2_3 Depth=1
	global_load_dwordx2 v[12:13], v[2:3], off
	v_add_nc_u32_e32 v0, -8, v30
.LBB2_11:                               ;   in Loop: Header=BB2_3 Depth=1
	s_or_b32 exec_lo, exec_lo, s4
	v_add_co_u32 v18, s4, v16, 8
	v_add_co_ci_u32_e64 v19, null, 0, v17, s4
                                        ; implicit-def: $vgpr14_vgpr15
	s_mov_b32 s4, exec_lo
	v_cmpx_gt_u32_e32 8, v0
	s_xor_b32 s12, exec_lo, s4
	s_cbranch_execz .LBB2_17
; %bb.12:                               ;   in Loop: Header=BB2_3 Depth=1
	v_mov_b32_e32 v14, 0
	v_mov_b32_e32 v15, 0
	s_mov_b32 s13, exec_lo
	v_cmpx_ne_u32_e32 0, v0
	s_cbranch_execz .LBB2_16
; %bb.13:                               ;   in Loop: Header=BB2_3 Depth=1
	v_mov_b32_e32 v14, 0
	v_mov_b32_e32 v15, 0
	s_mov_b64 s[4:5], 0
	s_mov_b32 s16, 0
	s_mov_b64 s[10:11], 0
	.p2align	6
.LBB2_14:                               ;   Parent Loop BB2_3 Depth=1
                                        ; =>  This Inner Loop Header: Depth=2
	v_add_co_u32 v18, vcc_lo, v16, s10
	v_add_co_ci_u32_e64 v19, null, s11, v17, vcc_lo
	s_add_u32 s10, s10, 1
	s_addc_u32 s11, s11, 0
	v_cmp_eq_u32_e32 vcc_lo, s10, v0
	global_load_ubyte v6, v[18:19], off
	v_mov_b32_e32 v19, s14
	s_waitcnt vmcnt(0)
	v_and_b32_e32 v18, 0xffff, v6
	v_lshlrev_b64 v[18:19], s4, v[18:19]
	s_add_u32 s4, s4, 8
	s_addc_u32 s5, s5, 0
	s_or_b32 s16, vcc_lo, s16
	v_or_b32_e32 v15, v19, v15
	v_or_b32_e32 v14, v18, v14
	s_andn2_b32 exec_lo, exec_lo, s16
	s_cbranch_execnz .LBB2_14
; %bb.15:                               ;   in Loop: Header=BB2_3 Depth=1
	s_or_b32 exec_lo, exec_lo, s16
.LBB2_16:                               ;   in Loop: Header=BB2_3 Depth=1
	s_or_b32 exec_lo, exec_lo, s13
	v_mov_b32_e32 v19, v17
	v_mov_b32_e32 v18, v16
                                        ; implicit-def: $vgpr0
.LBB2_17:                               ;   in Loop: Header=BB2_3 Depth=1
	s_or_saveexec_b32 s4, s12
	v_mov_b32_e32 v6, 0
	s_xor_b32 exec_lo, exec_lo, s4
	s_cbranch_execz .LBB2_19
; %bb.18:                               ;   in Loop: Header=BB2_3 Depth=1
	global_load_dwordx2 v[14:15], v[16:17], off
	v_add_nc_u32_e32 v6, -8, v0
.LBB2_19:                               ;   in Loop: Header=BB2_3 Depth=1
	s_or_b32 exec_lo, exec_lo, s4
	v_add_co_u32 v20, s4, v18, 8
	v_add_co_ci_u32_e64 v21, null, 0, v19, s4
	s_mov_b32 s4, exec_lo
	v_cmpx_gt_u32_e32 8, v6
	s_xor_b32 s12, exec_lo, s4
	s_cbranch_execz .LBB2_25
; %bb.20:                               ;   in Loop: Header=BB2_3 Depth=1
	v_mov_b32_e32 v16, 0
	v_mov_b32_e32 v17, 0
	s_mov_b32 s13, exec_lo
	v_cmpx_ne_u32_e32 0, v6
	s_cbranch_execz .LBB2_24
; %bb.21:                               ;   in Loop: Header=BB2_3 Depth=1
	v_mov_b32_e32 v16, 0
	v_mov_b32_e32 v17, 0
	s_mov_b64 s[4:5], 0
	s_mov_b32 s16, 0
	s_mov_b64 s[10:11], 0
	.p2align	6
.LBB2_22:                               ;   Parent Loop BB2_3 Depth=1
                                        ; =>  This Inner Loop Header: Depth=2
	v_add_co_u32 v20, vcc_lo, v18, s10
	v_add_co_ci_u32_e64 v21, null, s11, v19, vcc_lo
	s_add_u32 s10, s10, 1
	s_addc_u32 s11, s11, 0
	v_cmp_eq_u32_e32 vcc_lo, s10, v6
	global_load_ubyte v0, v[20:21], off
	v_mov_b32_e32 v21, s14
	s_waitcnt vmcnt(0)
	v_and_b32_e32 v20, 0xffff, v0
	v_lshlrev_b64 v[20:21], s4, v[20:21]
	s_add_u32 s4, s4, 8
	s_addc_u32 s5, s5, 0
	s_or_b32 s16, vcc_lo, s16
	v_or_b32_e32 v17, v21, v17
	v_or_b32_e32 v16, v20, v16
	s_andn2_b32 exec_lo, exec_lo, s16
	s_cbranch_execnz .LBB2_22
; %bb.23:                               ;   in Loop: Header=BB2_3 Depth=1
	s_or_b32 exec_lo, exec_lo, s16
.LBB2_24:                               ;   in Loop: Header=BB2_3 Depth=1
	s_or_b32 exec_lo, exec_lo, s13
	v_mov_b32_e32 v21, v19
	v_mov_b32_e32 v20, v18
                                        ; implicit-def: $vgpr6
.LBB2_25:                               ;   in Loop: Header=BB2_3 Depth=1
	s_or_saveexec_b32 s4, s12
	v_mov_b32_e32 v0, 0
	s_xor_b32 exec_lo, exec_lo, s4
	s_cbranch_execz .LBB2_27
; %bb.26:                               ;   in Loop: Header=BB2_3 Depth=1
	global_load_dwordx2 v[16:17], v[18:19], off
	v_add_nc_u32_e32 v0, -8, v6
.LBB2_27:                               ;   in Loop: Header=BB2_3 Depth=1
	s_or_b32 exec_lo, exec_lo, s4
	v_add_co_u32 v22, s4, v20, 8
	v_add_co_ci_u32_e64 v23, null, 0, v21, s4
                                        ; implicit-def: $vgpr18_vgpr19
	s_mov_b32 s4, exec_lo
	v_cmpx_gt_u32_e32 8, v0
	s_xor_b32 s12, exec_lo, s4
	s_cbranch_execz .LBB2_33
; %bb.28:                               ;   in Loop: Header=BB2_3 Depth=1
	v_mov_b32_e32 v18, 0
	v_mov_b32_e32 v19, 0
	s_mov_b32 s13, exec_lo
	v_cmpx_ne_u32_e32 0, v0
	s_cbranch_execz .LBB2_32
; %bb.29:                               ;   in Loop: Header=BB2_3 Depth=1
	v_mov_b32_e32 v18, 0
	v_mov_b32_e32 v19, 0
	s_mov_b64 s[4:5], 0
	s_mov_b32 s16, 0
	s_mov_b64 s[10:11], 0
	.p2align	6
.LBB2_30:                               ;   Parent Loop BB2_3 Depth=1
                                        ; =>  This Inner Loop Header: Depth=2
	v_add_co_u32 v22, vcc_lo, v20, s10
	v_add_co_ci_u32_e64 v23, null, s11, v21, vcc_lo
	s_add_u32 s10, s10, 1
	s_addc_u32 s11, s11, 0
	v_cmp_eq_u32_e32 vcc_lo, s10, v0
	global_load_ubyte v6, v[22:23], off
	v_mov_b32_e32 v23, s14
	s_waitcnt vmcnt(0)
	v_and_b32_e32 v22, 0xffff, v6
	v_lshlrev_b64 v[22:23], s4, v[22:23]
	s_add_u32 s4, s4, 8
	s_addc_u32 s5, s5, 0
	s_or_b32 s16, vcc_lo, s16
	v_or_b32_e32 v19, v23, v19
	v_or_b32_e32 v18, v22, v18
	s_andn2_b32 exec_lo, exec_lo, s16
	s_cbranch_execnz .LBB2_30
; %bb.31:                               ;   in Loop: Header=BB2_3 Depth=1
	s_or_b32 exec_lo, exec_lo, s16
.LBB2_32:                               ;   in Loop: Header=BB2_3 Depth=1
	s_or_b32 exec_lo, exec_lo, s13
	v_mov_b32_e32 v23, v21
	v_mov_b32_e32 v22, v20
                                        ; implicit-def: $vgpr0
.LBB2_33:                               ;   in Loop: Header=BB2_3 Depth=1
	s_or_saveexec_b32 s4, s12
	v_mov_b32_e32 v6, 0
	s_xor_b32 exec_lo, exec_lo, s4
	s_cbranch_execz .LBB2_35
; %bb.34:                               ;   in Loop: Header=BB2_3 Depth=1
	global_load_dwordx2 v[18:19], v[20:21], off
	v_add_nc_u32_e32 v6, -8, v0
.LBB2_35:                               ;   in Loop: Header=BB2_3 Depth=1
	s_or_b32 exec_lo, exec_lo, s4
	v_add_co_u32 v24, s4, v22, 8
	v_add_co_ci_u32_e64 v25, null, 0, v23, s4
	s_mov_b32 s4, exec_lo
	v_cmpx_gt_u32_e32 8, v6
	s_xor_b32 s12, exec_lo, s4
	s_cbranch_execz .LBB2_41
; %bb.36:                               ;   in Loop: Header=BB2_3 Depth=1
	v_mov_b32_e32 v20, 0
	v_mov_b32_e32 v21, 0
	s_mov_b32 s13, exec_lo
	v_cmpx_ne_u32_e32 0, v6
	s_cbranch_execz .LBB2_40
; %bb.37:                               ;   in Loop: Header=BB2_3 Depth=1
	v_mov_b32_e32 v20, 0
	v_mov_b32_e32 v21, 0
	s_mov_b64 s[4:5], 0
	s_mov_b32 s16, 0
	s_mov_b64 s[10:11], 0
	.p2align	6
.LBB2_38:                               ;   Parent Loop BB2_3 Depth=1
                                        ; =>  This Inner Loop Header: Depth=2
	v_add_co_u32 v24, vcc_lo, v22, s10
	v_add_co_ci_u32_e64 v25, null, s11, v23, vcc_lo
	s_add_u32 s10, s10, 1
	s_addc_u32 s11, s11, 0
	v_cmp_eq_u32_e32 vcc_lo, s10, v6
	global_load_ubyte v0, v[24:25], off
	v_mov_b32_e32 v25, s14
	s_waitcnt vmcnt(0)
	v_and_b32_e32 v24, 0xffff, v0
	v_lshlrev_b64 v[24:25], s4, v[24:25]
	s_add_u32 s4, s4, 8
	s_addc_u32 s5, s5, 0
	s_or_b32 s16, vcc_lo, s16
	v_or_b32_e32 v21, v25, v21
	v_or_b32_e32 v20, v24, v20
	s_andn2_b32 exec_lo, exec_lo, s16
	s_cbranch_execnz .LBB2_38
; %bb.39:                               ;   in Loop: Header=BB2_3 Depth=1
	s_or_b32 exec_lo, exec_lo, s16
.LBB2_40:                               ;   in Loop: Header=BB2_3 Depth=1
	s_or_b32 exec_lo, exec_lo, s13
	v_mov_b32_e32 v25, v23
	v_mov_b32_e32 v24, v22
                                        ; implicit-def: $vgpr6
.LBB2_41:                               ;   in Loop: Header=BB2_3 Depth=1
	s_or_saveexec_b32 s4, s12
	v_mov_b32_e32 v0, 0
	s_xor_b32 exec_lo, exec_lo, s4
	s_cbranch_execz .LBB2_43
; %bb.42:                               ;   in Loop: Header=BB2_3 Depth=1
	global_load_dwordx2 v[20:21], v[22:23], off
	v_add_nc_u32_e32 v0, -8, v6
.LBB2_43:                               ;   in Loop: Header=BB2_3 Depth=1
	s_or_b32 exec_lo, exec_lo, s4
	v_add_co_u32 v26, s4, v24, 8
	v_add_co_ci_u32_e64 v27, null, 0, v25, s4
                                        ; implicit-def: $vgpr22_vgpr23
	s_mov_b32 s4, exec_lo
	v_cmpx_gt_u32_e32 8, v0
	s_xor_b32 s12, exec_lo, s4
	s_cbranch_execz .LBB2_49
; %bb.44:                               ;   in Loop: Header=BB2_3 Depth=1
	v_mov_b32_e32 v22, 0
	v_mov_b32_e32 v23, 0
	s_mov_b32 s13, exec_lo
	v_cmpx_ne_u32_e32 0, v0
	s_cbranch_execz .LBB2_48
; %bb.45:                               ;   in Loop: Header=BB2_3 Depth=1
	v_mov_b32_e32 v22, 0
	v_mov_b32_e32 v23, 0
	s_mov_b64 s[4:5], 0
	s_mov_b32 s16, 0
	s_mov_b64 s[10:11], 0
	.p2align	6
.LBB2_46:                               ;   Parent Loop BB2_3 Depth=1
                                        ; =>  This Inner Loop Header: Depth=2
	v_add_co_u32 v26, vcc_lo, v24, s10
	v_add_co_ci_u32_e64 v27, null, s11, v25, vcc_lo
	s_add_u32 s10, s10, 1
	s_addc_u32 s11, s11, 0
	v_cmp_eq_u32_e32 vcc_lo, s10, v0
	global_load_ubyte v6, v[26:27], off
	v_mov_b32_e32 v27, s14
	s_waitcnt vmcnt(0)
	v_and_b32_e32 v26, 0xffff, v6
	v_lshlrev_b64 v[26:27], s4, v[26:27]
	s_add_u32 s4, s4, 8
	s_addc_u32 s5, s5, 0
	s_or_b32 s16, vcc_lo, s16
	v_or_b32_e32 v23, v27, v23
	v_or_b32_e32 v22, v26, v22
	s_andn2_b32 exec_lo, exec_lo, s16
	s_cbranch_execnz .LBB2_46
; %bb.47:                               ;   in Loop: Header=BB2_3 Depth=1
	s_or_b32 exec_lo, exec_lo, s16
.LBB2_48:                               ;   in Loop: Header=BB2_3 Depth=1
	s_or_b32 exec_lo, exec_lo, s13
	v_mov_b32_e32 v27, v25
	v_mov_b32_e32 v26, v24
                                        ; implicit-def: $vgpr0
.LBB2_49:                               ;   in Loop: Header=BB2_3 Depth=1
	s_or_saveexec_b32 s4, s12
	v_mov_b32_e32 v6, 0
	s_xor_b32 exec_lo, exec_lo, s4
	s_cbranch_execz .LBB2_51
; %bb.50:                               ;   in Loop: Header=BB2_3 Depth=1
	global_load_dwordx2 v[22:23], v[24:25], off
	v_add_nc_u32_e32 v6, -8, v0
.LBB2_51:                               ;   in Loop: Header=BB2_3 Depth=1
	s_or_b32 exec_lo, exec_lo, s4
	s_mov_b32 s4, exec_lo
	v_cmpx_gt_u32_e32 8, v6
	s_xor_b32 s10, exec_lo, s4
	s_cbranch_execz .LBB2_57
; %bb.52:                               ;   in Loop: Header=BB2_3 Depth=1
	v_mov_b32_e32 v24, 0
	v_mov_b32_e32 v25, 0
	s_mov_b32 s11, exec_lo
	v_cmpx_ne_u32_e32 0, v6
	s_cbranch_execz .LBB2_56
; %bb.53:                               ;   in Loop: Header=BB2_3 Depth=1
	v_mov_b32_e32 v24, 0
	v_mov_b32_e32 v25, 0
	s_mov_b64 s[4:5], 0
	s_mov_b32 s12, 0
	.p2align	6
.LBB2_54:                               ;   Parent Loop BB2_3 Depth=1
                                        ; =>  This Inner Loop Header: Depth=2
	global_load_ubyte v0, v[26:27], off
	v_mov_b32_e32 v29, s14
	v_add_nc_u32_e32 v6, -1, v6
	v_add_co_u32 v26, vcc_lo, v26, 1
	v_add_co_ci_u32_e64 v27, null, 0, v27, vcc_lo
	v_cmp_eq_u32_e32 vcc_lo, 0, v6
	s_waitcnt vmcnt(0)
	v_and_b32_e32 v28, 0xffff, v0
	v_lshlrev_b64 v[28:29], s4, v[28:29]
	s_add_u32 s4, s4, 8
	s_addc_u32 s5, s5, 0
	s_or_b32 s12, vcc_lo, s12
	v_or_b32_e32 v25, v29, v25
	v_or_b32_e32 v24, v28, v24
	s_andn2_b32 exec_lo, exec_lo, s12
	s_cbranch_execnz .LBB2_54
; %bb.55:                               ;   in Loop: Header=BB2_3 Depth=1
	s_or_b32 exec_lo, exec_lo, s12
.LBB2_56:                               ;   in Loop: Header=BB2_3 Depth=1
	s_or_b32 exec_lo, exec_lo, s11
                                        ; implicit-def: $vgpr26_vgpr27
.LBB2_57:                               ;   in Loop: Header=BB2_3 Depth=1
	s_andn2_saveexec_b32 s4, s10
	s_cbranch_execz .LBB2_59
; %bb.58:                               ;   in Loop: Header=BB2_3 Depth=1
	global_load_dwordx2 v[24:25], v[26:27], off
.LBB2_59:                               ;   in Loop: Header=BB2_3 Depth=1
	s_or_b32 exec_lo, exec_lo, s4
	v_readfirstlane_b32 s4, v35
	v_mov_b32_e32 v32, 0
	v_mov_b32_e32 v33, 0
	v_cmp_eq_u32_e64 s4, s4, v35
	s_and_saveexec_b32 s5, s4
	s_cbranch_execz .LBB2_65
; %bb.60:                               ;   in Loop: Header=BB2_3 Depth=1
	s_waitcnt lgkmcnt(0)
	global_load_dwordx2 v[28:29], v7, s[6:7] offset:24 glc dlc
	s_waitcnt vmcnt(0)
	buffer_gl1_inv
	buffer_gl0_inv
	s_clause 0x1
	global_load_dwordx2 v[26:27], v7, s[6:7] offset:40
	global_load_dwordx2 v[32:33], v7, s[6:7]
	s_mov_b32 s10, exec_lo
	s_waitcnt vmcnt(1)
	v_and_b32_e32 v0, v27, v29
	v_and_b32_e32 v6, v26, v28
	v_mul_lo_u32 v0, v0, 24
	v_mul_hi_u32 v26, v6, 24
	v_mul_lo_u32 v6, v6, 24
	v_add_nc_u32_e32 v0, v26, v0
	s_waitcnt vmcnt(0)
	v_add_co_u32 v26, vcc_lo, v32, v6
	v_add_co_ci_u32_e64 v27, null, v33, v0, vcc_lo
	global_load_dwordx2 v[26:27], v[26:27], off glc dlc
	s_waitcnt vmcnt(0)
	global_atomic_cmpswap_x2 v[32:33], v7, v[26:29], s[6:7] offset:24 glc
	s_waitcnt vmcnt(0)
	buffer_gl1_inv
	buffer_gl0_inv
	v_cmpx_ne_u64_e64 v[32:33], v[28:29]
	s_cbranch_execz .LBB2_64
; %bb.61:                               ;   in Loop: Header=BB2_3 Depth=1
	s_mov_b32 s11, 0
	.p2align	6
.LBB2_62:                               ;   Parent Loop BB2_3 Depth=1
                                        ; =>  This Inner Loop Header: Depth=2
	s_sleep 1
	s_clause 0x1
	global_load_dwordx2 v[26:27], v7, s[6:7] offset:40
	global_load_dwordx2 v[37:38], v7, s[6:7]
	v_mov_b32_e32 v28, v32
	v_mov_b32_e32 v29, v33
	s_waitcnt vmcnt(1)
	v_and_b32_e32 v0, v26, v28
	v_and_b32_e32 v6, v27, v29
	s_waitcnt vmcnt(0)
	v_mad_u64_u32 v[32:33], null, v0, 24, v[37:38]
	v_mov_b32_e32 v0, v33
	v_mad_u64_u32 v[26:27], null, v6, 24, v[0:1]
	v_mov_b32_e32 v33, v26
	global_load_dwordx2 v[26:27], v[32:33], off glc dlc
	s_waitcnt vmcnt(0)
	global_atomic_cmpswap_x2 v[32:33], v7, v[26:29], s[6:7] offset:24 glc
	s_waitcnt vmcnt(0)
	buffer_gl1_inv
	buffer_gl0_inv
	v_cmp_eq_u64_e32 vcc_lo, v[32:33], v[28:29]
	s_or_b32 s11, vcc_lo, s11
	s_andn2_b32 exec_lo, exec_lo, s11
	s_cbranch_execnz .LBB2_62
; %bb.63:                               ;   in Loop: Header=BB2_3 Depth=1
	s_or_b32 exec_lo, exec_lo, s11
.LBB2_64:                               ;   in Loop: Header=BB2_3 Depth=1
	s_or_b32 exec_lo, exec_lo, s10
.LBB2_65:                               ;   in Loop: Header=BB2_3 Depth=1
	s_or_b32 exec_lo, exec_lo, s5
	s_waitcnt lgkmcnt(0)
	s_clause 0x1
	global_load_dwordx2 v[37:38], v7, s[6:7] offset:40
	global_load_dwordx4 v[26:29], v7, s[6:7]
	v_readfirstlane_b32 s11, v33
	v_readfirstlane_b32 s10, v32
	s_mov_b32 s5, exec_lo
	s_waitcnt vmcnt(1)
	v_readfirstlane_b32 s12, v37
	v_readfirstlane_b32 s13, v38
	s_and_b64 s[12:13], s[12:13], s[10:11]
	s_mul_i32 s16, s13, 24
	s_mul_hi_u32 s17, s12, 24
	s_mul_i32 s18, s12, 24
	s_add_i32 s17, s17, s16
	s_waitcnt vmcnt(0)
	v_add_co_u32 v32, vcc_lo, v26, s18
	v_add_co_ci_u32_e64 v33, null, s17, v27, vcc_lo
	s_and_saveexec_b32 s16, s4
	s_cbranch_execz .LBB2_67
; %bb.66:                               ;   in Loop: Header=BB2_3 Depth=1
	v_mov_b32_e32 v6, s5
	global_store_dwordx4 v[32:33], v[6:9], off offset:8
.LBB2_67:                               ;   in Loop: Header=BB2_3 Depth=1
	s_or_b32 exec_lo, exec_lo, s16
	v_cmp_gt_u64_e32 vcc_lo, 57, v[4:5]
	s_lshl_b64 s[12:13], s[12:13], 12
	v_and_b32_e32 v10, 0xffffff1f, v10
	v_lshl_add_u32 v37, v30, 2, 28
	v_cndmask_b32_e32 v6, 0, v36, vcc_lo
	v_add_co_u32 v0, vcc_lo, v28, s12
	v_add_co_ci_u32_e64 v28, null, s13, v29, vcc_lo
	v_or_b32_e32 v6, v10, v6
	v_lshlrev_b32_e32 v29, 6, v35
	v_readfirstlane_b32 s12, v0
	v_readfirstlane_b32 s13, v28
	v_and_or_b32 v10, 0x1e0, v37, v6
	global_store_dwordx4 v29, v[14:17], s[12:13] offset:16
	global_store_dwordx4 v29, v[10:13], s[12:13]
	global_store_dwordx4 v29, v[18:21], s[12:13] offset:32
	global_store_dwordx4 v29, v[22:25], s[12:13] offset:48
	s_and_saveexec_b32 s5, s4
	s_cbranch_execz .LBB2_75
; %bb.68:                               ;   in Loop: Header=BB2_3 Depth=1
	s_clause 0x1
	global_load_dwordx2 v[18:19], v7, s[6:7] offset:32 glc dlc
	global_load_dwordx2 v[10:11], v7, s[6:7] offset:40
	v_mov_b32_e32 v16, s10
	v_mov_b32_e32 v17, s11
	s_waitcnt vmcnt(0)
	v_readfirstlane_b32 s12, v10
	v_readfirstlane_b32 s13, v11
	s_and_b64 s[12:13], s[12:13], s[10:11]
	s_mul_i32 s13, s13, 24
	s_mul_hi_u32 s16, s12, 24
	s_mul_i32 s12, s12, 24
	s_add_i32 s16, s16, s13
	v_add_co_u32 v14, vcc_lo, v26, s12
	v_add_co_ci_u32_e64 v15, null, s16, v27, vcc_lo
	s_mov_b32 s12, exec_lo
	global_store_dwordx2 v[14:15], v[18:19], off
	s_waitcnt_vscnt null, 0x0
	global_atomic_cmpswap_x2 v[12:13], v7, v[16:19], s[6:7] offset:32 glc
	s_waitcnt vmcnt(0)
	v_cmpx_ne_u64_e64 v[12:13], v[18:19]
	s_cbranch_execz .LBB2_71
; %bb.69:                               ;   in Loop: Header=BB2_3 Depth=1
	s_mov_b32 s13, 0
.LBB2_70:                               ;   Parent Loop BB2_3 Depth=1
                                        ; =>  This Inner Loop Header: Depth=2
	v_mov_b32_e32 v10, s10
	v_mov_b32_e32 v11, s11
	s_sleep 1
	global_store_dwordx2 v[14:15], v[12:13], off
	s_waitcnt_vscnt null, 0x0
	global_atomic_cmpswap_x2 v[10:11], v7, v[10:13], s[6:7] offset:32 glc
	s_waitcnt vmcnt(0)
	v_cmp_eq_u64_e32 vcc_lo, v[10:11], v[12:13]
	v_mov_b32_e32 v13, v11
	v_mov_b32_e32 v12, v10
	s_or_b32 s13, vcc_lo, s13
	s_andn2_b32 exec_lo, exec_lo, s13
	s_cbranch_execnz .LBB2_70
.LBB2_71:                               ;   in Loop: Header=BB2_3 Depth=1
	s_or_b32 exec_lo, exec_lo, s12
	global_load_dwordx2 v[10:11], v7, s[6:7] offset:16
	s_mov_b32 s13, exec_lo
	s_mov_b32 s12, exec_lo
	v_mbcnt_lo_u32_b32 v6, s13, 0
	v_cmpx_eq_u32_e32 0, v6
	s_cbranch_execz .LBB2_73
; %bb.72:                               ;   in Loop: Header=BB2_3 Depth=1
	s_bcnt1_i32_b32 s13, s13
	v_mov_b32_e32 v6, s13
	s_waitcnt vmcnt(0)
	global_atomic_add_x2 v[10:11], v[6:7], off offset:8
.LBB2_73:                               ;   in Loop: Header=BB2_3 Depth=1
	s_or_b32 exec_lo, exec_lo, s12
	s_waitcnt vmcnt(0)
	global_load_dwordx2 v[12:13], v[10:11], off offset:16
	s_waitcnt vmcnt(0)
	v_cmp_eq_u64_e32 vcc_lo, 0, v[12:13]
	s_cbranch_vccnz .LBB2_75
; %bb.74:                               ;   in Loop: Header=BB2_3 Depth=1
	global_load_dword v6, v[10:11], off offset:24
	s_waitcnt vmcnt(0)
	v_readfirstlane_b32 s12, v6
	s_waitcnt_vscnt null, 0x0
	global_store_dwordx2 v[12:13], v[6:7], off
	s_and_b32 m0, s12, 0x7fffff
	s_sendmsg sendmsg(MSG_INTERRUPT)
.LBB2_75:                               ;   in Loop: Header=BB2_3 Depth=1
	s_or_b32 exec_lo, exec_lo, s5
	v_add_co_u32 v10, vcc_lo, v0, v29
	v_add_co_ci_u32_e64 v11, null, 0, v28, vcc_lo
	s_branch .LBB2_79
	.p2align	6
.LBB2_76:                               ;   in Loop: Header=BB2_79 Depth=2
	s_or_b32 exec_lo, exec_lo, s5
	v_readfirstlane_b32 s5, v0
	s_cmp_eq_u32 s5, 0
	s_cbranch_scc1 .LBB2_78
; %bb.77:                               ;   in Loop: Header=BB2_79 Depth=2
	s_sleep 1
	s_cbranch_execnz .LBB2_79
	s_branch .LBB2_81
	.p2align	6
.LBB2_78:                               ;   in Loop: Header=BB2_3 Depth=1
	s_branch .LBB2_81
.LBB2_79:                               ;   Parent Loop BB2_3 Depth=1
                                        ; =>  This Inner Loop Header: Depth=2
	v_mov_b32_e32 v0, 1
	s_and_saveexec_b32 s5, s4
	s_cbranch_execz .LBB2_76
; %bb.80:                               ;   in Loop: Header=BB2_79 Depth=2
	global_load_dword v0, v[32:33], off offset:20 glc dlc
	s_waitcnt vmcnt(0)
	buffer_gl1_inv
	buffer_gl0_inv
	v_and_b32_e32 v0, 1, v0
	s_branch .LBB2_76
.LBB2_81:                               ;   in Loop: Header=BB2_3 Depth=1
	global_load_dwordx4 v[10:13], v[10:11], off
	s_and_saveexec_b32 s12, s4
	s_cbranch_execz .LBB2_2
; %bb.82:                               ;   in Loop: Header=BB2_3 Depth=1
	s_clause 0x2
	global_load_dwordx2 v[12:13], v7, s[6:7] offset:40
	global_load_dwordx2 v[20:21], v7, s[6:7] offset:24 glc dlc
	global_load_dwordx2 v[14:15], v7, s[6:7]
	s_waitcnt vmcnt(2)
	v_readfirstlane_b32 s16, v12
	v_readfirstlane_b32 s17, v13
	s_add_u32 s13, s16, 1
	s_addc_u32 s18, s17, 0
	s_add_u32 s4, s13, s10
	s_addc_u32 s5, s18, s11
	s_cmp_eq_u64 s[4:5], 0
	s_cselect_b32 s5, s18, s5
	s_cselect_b32 s4, s13, s4
	v_mov_b32_e32 v19, s5
	s_and_b64 s[10:11], s[4:5], s[16:17]
	v_mov_b32_e32 v18, s4
	s_mul_i32 s11, s11, 24
	s_mul_hi_u32 s13, s10, 24
	s_mul_i32 s10, s10, 24
	s_add_i32 s13, s13, s11
	s_waitcnt vmcnt(0)
	v_add_co_u32 v16, vcc_lo, v14, s10
	v_add_co_ci_u32_e64 v17, null, s13, v15, vcc_lo
	global_store_dwordx2 v[16:17], v[20:21], off
	s_waitcnt_vscnt null, 0x0
	global_atomic_cmpswap_x2 v[14:15], v7, v[18:21], s[6:7] offset:24 glc
	s_waitcnt vmcnt(0)
	v_cmp_ne_u64_e32 vcc_lo, v[14:15], v[20:21]
	s_and_b32 exec_lo, exec_lo, vcc_lo
	s_cbranch_execz .LBB2_2
; %bb.83:                               ;   in Loop: Header=BB2_3 Depth=1
	s_mov_b32 s10, 0
.LBB2_84:                               ;   Parent Loop BB2_3 Depth=1
                                        ; =>  This Inner Loop Header: Depth=2
	v_mov_b32_e32 v12, s4
	v_mov_b32_e32 v13, s5
	s_sleep 1
	global_store_dwordx2 v[16:17], v[14:15], off
	s_waitcnt_vscnt null, 0x0
	global_atomic_cmpswap_x2 v[12:13], v7, v[12:15], s[6:7] offset:24 glc
	s_waitcnt vmcnt(0)
	v_cmp_eq_u64_e32 vcc_lo, v[12:13], v[14:15]
	v_mov_b32_e32 v15, v13
	v_mov_b32_e32 v14, v12
	s_or_b32 s10, vcc_lo, s10
	s_andn2_b32 exec_lo, exec_lo, s10
	s_cbranch_execnz .LBB2_84
	s_branch .LBB2_2
.LBB2_85:
	s_or_b32 exec_lo, exec_lo, s15
	s_branch .LBB2_114
.LBB2_86:
	s_load_dwordx2 s[6:7], s[8:9], 0x50
	v_readfirstlane_b32 s4, v35
	v_mov_b32_e32 v8, 0
	v_mov_b32_e32 v9, 0
	v_cmp_eq_u32_e64 s4, s4, v35
	s_and_saveexec_b32 s5, s4
	s_cbranch_execz .LBB2_92
; %bb.87:
	v_mov_b32_e32 v0, 0
	s_mov_b32 s8, exec_lo
	s_waitcnt lgkmcnt(0)
	global_load_dwordx2 v[4:5], v0, s[6:7] offset:24 glc dlc
	s_waitcnt vmcnt(0)
	buffer_gl1_inv
	buffer_gl0_inv
	s_clause 0x1
	global_load_dwordx2 v[2:3], v0, s[6:7] offset:40
	global_load_dwordx2 v[6:7], v0, s[6:7]
	s_waitcnt vmcnt(1)
	v_and_b32_e32 v3, v3, v5
	v_and_b32_e32 v2, v2, v4
	v_mul_lo_u32 v3, v3, 24
	v_mul_hi_u32 v8, v2, 24
	v_mul_lo_u32 v2, v2, 24
	v_add_nc_u32_e32 v3, v8, v3
	s_waitcnt vmcnt(0)
	v_add_co_u32 v2, vcc_lo, v6, v2
	v_add_co_ci_u32_e64 v3, null, v7, v3, vcc_lo
	global_load_dwordx2 v[2:3], v[2:3], off glc dlc
	s_waitcnt vmcnt(0)
	global_atomic_cmpswap_x2 v[8:9], v0, v[2:5], s[6:7] offset:24 glc
	s_waitcnt vmcnt(0)
	buffer_gl1_inv
	buffer_gl0_inv
	v_cmpx_ne_u64_e64 v[8:9], v[4:5]
	s_cbranch_execz .LBB2_91
; %bb.88:
	s_mov_b32 s9, 0
	.p2align	6
.LBB2_89:                               ; =>This Inner Loop Header: Depth=1
	s_sleep 1
	s_clause 0x1
	global_load_dwordx2 v[2:3], v0, s[6:7] offset:40
	global_load_dwordx2 v[6:7], v0, s[6:7]
	v_mov_b32_e32 v4, v8
	v_mov_b32_e32 v5, v9
	s_waitcnt vmcnt(1)
	v_and_b32_e32 v2, v2, v4
	v_and_b32_e32 v3, v3, v5
	s_waitcnt vmcnt(0)
	v_mad_u64_u32 v[6:7], null, v2, 24, v[6:7]
	v_mov_b32_e32 v2, v7
	v_mad_u64_u32 v[2:3], null, v3, 24, v[2:3]
	v_mov_b32_e32 v7, v2
	global_load_dwordx2 v[2:3], v[6:7], off glc dlc
	s_waitcnt vmcnt(0)
	global_atomic_cmpswap_x2 v[8:9], v0, v[2:5], s[6:7] offset:24 glc
	s_waitcnt vmcnt(0)
	buffer_gl1_inv
	buffer_gl0_inv
	v_cmp_eq_u64_e32 vcc_lo, v[8:9], v[4:5]
	s_or_b32 s9, vcc_lo, s9
	s_andn2_b32 exec_lo, exec_lo, s9
	s_cbranch_execnz .LBB2_89
; %bb.90:
	s_or_b32 exec_lo, exec_lo, s9
.LBB2_91:
	s_or_b32 exec_lo, exec_lo, s8
.LBB2_92:
	s_or_b32 exec_lo, exec_lo, s5
	v_mov_b32_e32 v2, 0
	v_readfirstlane_b32 s9, v9
	v_readfirstlane_b32 s8, v8
	s_mov_b32 s5, exec_lo
	s_waitcnt lgkmcnt(0)
	s_clause 0x1
	global_load_dwordx2 v[10:11], v2, s[6:7] offset:40
	global_load_dwordx4 v[4:7], v2, s[6:7]
	s_waitcnt vmcnt(1)
	v_readfirstlane_b32 s10, v10
	v_readfirstlane_b32 s11, v11
	s_and_b64 s[10:11], s[10:11], s[8:9]
	s_mul_i32 s12, s11, 24
	s_mul_hi_u32 s13, s10, 24
	s_mul_i32 s14, s10, 24
	s_add_i32 s13, s13, s12
	s_waitcnt vmcnt(0)
	v_add_co_u32 v8, vcc_lo, v4, s14
	v_add_co_ci_u32_e64 v9, null, s13, v5, vcc_lo
	s_and_saveexec_b32 s12, s4
	s_cbranch_execz .LBB2_94
; %bb.93:
	v_mov_b32_e32 v10, s5
	v_mov_b32_e32 v11, v2
	;; [unrolled: 1-line block ×4, first 2 shown]
	global_store_dwordx4 v[8:9], v[10:13], off offset:8
.LBB2_94:
	s_or_b32 exec_lo, exec_lo, s12
	s_lshl_b64 s[10:11], s[10:11], 12
	s_mov_b32 s12, 0
	v_add_co_u32 v6, vcc_lo, v6, s10
	v_add_co_ci_u32_e64 v7, null, s11, v7, vcc_lo
	s_mov_b32 s13, s12
	s_mov_b32 s14, s12
	;; [unrolled: 1-line block ×3, first 2 shown]
	v_and_or_b32 v0, 0xffffff1f, v34, 32
	v_lshlrev_b32_e32 v14, 6, v35
	v_mov_b32_e32 v3, v2
	v_readfirstlane_b32 s10, v6
	v_readfirstlane_b32 s11, v7
	v_mov_b32_e32 v10, s12
	v_mov_b32_e32 v11, s13
	;; [unrolled: 1-line block ×4, first 2 shown]
	global_store_dwordx4 v14, v[0:3], s[10:11]
	global_store_dwordx4 v14, v[10:13], s[10:11] offset:16
	global_store_dwordx4 v14, v[10:13], s[10:11] offset:32
	;; [unrolled: 1-line block ×3, first 2 shown]
	s_and_saveexec_b32 s5, s4
	s_cbranch_execz .LBB2_102
; %bb.95:
	v_mov_b32_e32 v6, 0
	v_mov_b32_e32 v10, s8
	v_mov_b32_e32 v11, s9
	s_mov_b32 s10, exec_lo
	s_clause 0x1
	global_load_dwordx2 v[12:13], v6, s[6:7] offset:32 glc dlc
	global_load_dwordx2 v[0:1], v6, s[6:7] offset:40
	s_waitcnt vmcnt(0)
	v_and_b32_e32 v1, s9, v1
	v_and_b32_e32 v0, s8, v0
	v_mul_lo_u32 v1, v1, 24
	v_mul_hi_u32 v2, v0, 24
	v_mul_lo_u32 v0, v0, 24
	v_add_nc_u32_e32 v1, v2, v1
	v_add_co_u32 v4, vcc_lo, v4, v0
	v_add_co_ci_u32_e64 v5, null, v5, v1, vcc_lo
	global_store_dwordx2 v[4:5], v[12:13], off
	s_waitcnt_vscnt null, 0x0
	global_atomic_cmpswap_x2 v[2:3], v6, v[10:13], s[6:7] offset:32 glc
	s_waitcnt vmcnt(0)
	v_cmpx_ne_u64_e64 v[2:3], v[12:13]
	s_cbranch_execz .LBB2_98
; %bb.96:
	s_mov_b32 s11, 0
.LBB2_97:                               ; =>This Inner Loop Header: Depth=1
	v_mov_b32_e32 v0, s8
	v_mov_b32_e32 v1, s9
	s_sleep 1
	global_store_dwordx2 v[4:5], v[2:3], off
	s_waitcnt_vscnt null, 0x0
	global_atomic_cmpswap_x2 v[0:1], v6, v[0:3], s[6:7] offset:32 glc
	s_waitcnt vmcnt(0)
	v_cmp_eq_u64_e32 vcc_lo, v[0:1], v[2:3]
	v_mov_b32_e32 v3, v1
	v_mov_b32_e32 v2, v0
	s_or_b32 s11, vcc_lo, s11
	s_andn2_b32 exec_lo, exec_lo, s11
	s_cbranch_execnz .LBB2_97
.LBB2_98:
	s_or_b32 exec_lo, exec_lo, s10
	v_mov_b32_e32 v3, 0
	s_mov_b32 s11, exec_lo
	s_mov_b32 s10, exec_lo
	v_mbcnt_lo_u32_b32 v2, s11, 0
	global_load_dwordx2 v[0:1], v3, s[6:7] offset:16
	v_cmpx_eq_u32_e32 0, v2
	s_cbranch_execz .LBB2_100
; %bb.99:
	s_bcnt1_i32_b32 s11, s11
	v_mov_b32_e32 v2, s11
	s_waitcnt vmcnt(0)
	global_atomic_add_x2 v[0:1], v[2:3], off offset:8
.LBB2_100:
	s_or_b32 exec_lo, exec_lo, s10
	s_waitcnt vmcnt(0)
	global_load_dwordx2 v[2:3], v[0:1], off offset:16
	s_waitcnt vmcnt(0)
	v_cmp_eq_u64_e32 vcc_lo, 0, v[2:3]
	s_cbranch_vccnz .LBB2_102
; %bb.101:
	global_load_dword v0, v[0:1], off offset:24
	v_mov_b32_e32 v1, 0
	s_waitcnt vmcnt(0)
	v_readfirstlane_b32 s10, v0
	s_waitcnt_vscnt null, 0x0
	global_store_dwordx2 v[2:3], v[0:1], off
	s_and_b32 m0, s10, 0x7fffff
	s_sendmsg sendmsg(MSG_INTERRUPT)
.LBB2_102:
	s_or_b32 exec_lo, exec_lo, s5
	s_branch .LBB2_106
	.p2align	6
.LBB2_103:                              ;   in Loop: Header=BB2_106 Depth=1
	s_or_b32 exec_lo, exec_lo, s5
	v_readfirstlane_b32 s5, v0
	s_cmp_eq_u32 s5, 0
	s_cbranch_scc1 .LBB2_105
; %bb.104:                              ;   in Loop: Header=BB2_106 Depth=1
	s_sleep 1
	s_cbranch_execnz .LBB2_106
	s_branch .LBB2_108
	.p2align	6
.LBB2_105:
	s_branch .LBB2_108
.LBB2_106:                              ; =>This Inner Loop Header: Depth=1
	v_mov_b32_e32 v0, 1
	s_and_saveexec_b32 s5, s4
	s_cbranch_execz .LBB2_103
; %bb.107:                              ;   in Loop: Header=BB2_106 Depth=1
	global_load_dword v0, v[8:9], off offset:20 glc dlc
	s_waitcnt vmcnt(0)
	buffer_gl1_inv
	buffer_gl0_inv
	v_and_b32_e32 v0, 1, v0
	s_branch .LBB2_103
.LBB2_108:
	s_and_saveexec_b32 s10, s4
	s_cbranch_execz .LBB2_112
; %bb.109:
	v_mov_b32_e32 v6, 0
	s_clause 0x2
	global_load_dwordx2 v[0:1], v6, s[6:7] offset:40
	global_load_dwordx2 v[9:10], v6, s[6:7] offset:24 glc dlc
	global_load_dwordx2 v[2:3], v6, s[6:7]
	s_waitcnt vmcnt(2)
	v_readfirstlane_b32 s12, v0
	v_readfirstlane_b32 s13, v1
	s_add_u32 s11, s12, 1
	s_addc_u32 s14, s13, 0
	s_add_u32 s4, s11, s8
	s_addc_u32 s5, s14, s9
	s_cmp_eq_u64 s[4:5], 0
	s_cselect_b32 s5, s14, s5
	s_cselect_b32 s4, s11, s4
	v_mov_b32_e32 v8, s5
	s_and_b64 s[8:9], s[4:5], s[12:13]
	v_mov_b32_e32 v7, s4
	s_mul_i32 s9, s9, 24
	s_mul_hi_u32 s11, s8, 24
	s_mul_i32 s8, s8, 24
	s_add_i32 s11, s11, s9
	s_waitcnt vmcnt(0)
	v_add_co_u32 v4, vcc_lo, v2, s8
	v_add_co_ci_u32_e64 v5, null, s11, v3, vcc_lo
	global_store_dwordx2 v[4:5], v[9:10], off
	s_waitcnt_vscnt null, 0x0
	global_atomic_cmpswap_x2 v[2:3], v6, v[7:10], s[6:7] offset:24 glc
	s_waitcnt vmcnt(0)
	v_cmp_ne_u64_e32 vcc_lo, v[2:3], v[9:10]
	s_and_b32 exec_lo, exec_lo, vcc_lo
	s_cbranch_execz .LBB2_112
; %bb.110:
	s_mov_b32 s8, 0
.LBB2_111:                              ; =>This Inner Loop Header: Depth=1
	v_mov_b32_e32 v0, s4
	v_mov_b32_e32 v1, s5
	s_sleep 1
	global_store_dwordx2 v[4:5], v[2:3], off
	s_waitcnt_vscnt null, 0x0
	global_atomic_cmpswap_x2 v[0:1], v6, v[0:3], s[6:7] offset:24 glc
	s_waitcnt vmcnt(0)
	v_cmp_eq_u64_e32 vcc_lo, v[0:1], v[2:3]
	v_mov_b32_e32 v3, v1
	v_mov_b32_e32 v2, v0
	s_or_b32 s8, vcc_lo, s8
	s_andn2_b32 exec_lo, exec_lo, s8
	s_cbranch_execnz .LBB2_111
.LBB2_112:
	s_or_b32 exec_lo, exec_lo, s10
	s_waitcnt lgkmcnt(0)
	s_setpc_b64 s[30:31]
.LBB2_113:
	s_cbranch_execnz .LBB2_86
.LBB2_114:
	s_waitcnt vmcnt(0) lgkmcnt(0)
	s_setpc_b64 s[30:31]
.Lfunc_end2:
	.size	__ockl_fprintf_append_string_n, .Lfunc_end2-__ockl_fprintf_append_string_n
                                        ; -- End function
	.set .L__ockl_fprintf_append_string_n.num_vgpr, 39
	.set .L__ockl_fprintf_append_string_n.num_agpr, 0
	.set .L__ockl_fprintf_append_string_n.numbered_sgpr, 32
	.set .L__ockl_fprintf_append_string_n.num_named_barrier, 0
	.set .L__ockl_fprintf_append_string_n.private_seg_size, 0
	.set .L__ockl_fprintf_append_string_n.uses_vcc, 1
	.set .L__ockl_fprintf_append_string_n.uses_flat_scratch, 0
	.set .L__ockl_fprintf_append_string_n.has_dyn_sized_stack, 0
	.set .L__ockl_fprintf_append_string_n.has_recursion, 0
	.set .L__ockl_fprintf_append_string_n.has_indirect_call, 0
	.section	.AMDGPU.csdata,"",@progbits
; Function info:
; codeLenInByte = 4528
; TotalNumSgprs: 34
; NumVgprs: 39
; ScratchSize: 0
; MemoryBound: 0
	.text
	.p2align	2                               ; -- Begin function __assert_fail
	.type	__assert_fail,@function
__assert_fail:                          ; @__assert_fail
; %bb.0:
	s_waitcnt vmcnt(0) expcnt(0) lgkmcnt(0)
	s_mov_b32 s24, s33
	s_mov_b32 s33, s32
	s_xor_saveexec_b32 s4, -1
	buffer_store_dword v39, off, s[0:3], s33 offset:48 ; 4-byte Folded Spill
	s_mov_b32 exec_lo, s4
	v_writelane_b32 v39, s30, 0
	s_addk_i32 s32, 0x800
	v_writelane_b32 v39, s31, 1
	v_mov_b32_e32 v4, v0
	v_mov_b32_e32 v0, 0
	s_getpc_b64 s[4:5]
	s_add_u32 s4, s4, __const.__assert_fail.fmt@rel32@lo+35
	s_addc_u32 s5, s5, __const.__assert_fail.fmt@rel32@hi+43
	v_mbcnt_lo_u32_b32 v32, -1, 0
	v_mov_b32_e32 v6, 0
	v_mov_b32_e32 v5, v1
	global_load_dwordx4 v[8:11], v0, s[4:5]
	s_getpc_b64 s[4:5]
	s_add_u32 s4, s4, __const.__assert_fail.fmt@rel32@lo+4
	s_addc_u32 s5, s5, __const.__assert_fail.fmt@rel32@hi+12
	s_getpc_b64 s[6:7]
	s_add_u32 s6, s6, __const.__assert_fail.fmt@rel32@lo+20
	s_addc_u32 s7, s7, __const.__assert_fail.fmt@rel32@hi+28
	s_clause 0x1
	s_load_dwordx4 s[12:15], s[4:5], 0x0
	s_load_dwordx4 s[16:19], s[6:7], 0x0
	s_load_dwordx2 s[6:7], s[8:9], 0x50
	v_readfirstlane_b32 s4, v32
	v_mov_b32_e32 v7, 0
	v_cmp_eq_u32_e64 s4, s4, v32
	s_waitcnt lgkmcnt(0)
	v_mov_b32_e32 v1, s15
	v_mov_b32_e32 v2, s14
	;; [unrolled: 1-line block ×8, first 2 shown]
	buffer_store_dword v1, off, s[0:3], s33 offset:12
	buffer_store_dword v2, off, s[0:3], s33 offset:8
	;; [unrolled: 1-line block ×3, first 2 shown]
	buffer_store_dword v12, off, s[0:3], s33
	buffer_store_dword v13, off, s[0:3], s33 offset:28
	buffer_store_dword v14, off, s[0:3], s33 offset:24
	buffer_store_dword v15, off, s[0:3], s33 offset:20
	buffer_store_dword v16, off, s[0:3], s33 offset:16
	s_waitcnt vmcnt(0)
	buffer_store_dword v11, off, s[0:3], s33 offset:43
	buffer_store_dword v10, off, s[0:3], s33 offset:39
	;; [unrolled: 1-line block ×4, first 2 shown]
	s_and_saveexec_b32 s5, s4
	s_cbranch_execz .LBB3_6
; %bb.1:
	global_load_dwordx2 v[8:9], v0, s[6:7] offset:24 glc dlc
	s_waitcnt vmcnt(0)
	buffer_gl1_inv
	buffer_gl0_inv
	s_clause 0x1
	global_load_dwordx2 v[1:2], v0, s[6:7] offset:40
	global_load_dwordx2 v[6:7], v0, s[6:7]
	s_mov_b32 s10, exec_lo
	s_waitcnt vmcnt(1)
	v_and_b32_e32 v2, v2, v9
	v_and_b32_e32 v1, v1, v8
	v_mul_lo_u32 v2, v2, 24
	v_mul_hi_u32 v3, v1, 24
	v_mul_lo_u32 v1, v1, 24
	v_add_nc_u32_e32 v2, v3, v2
	s_waitcnt vmcnt(0)
	v_add_co_u32 v1, vcc_lo, v6, v1
	v_add_co_ci_u32_e64 v2, null, v7, v2, vcc_lo
	global_load_dwordx2 v[6:7], v[1:2], off glc dlc
	s_waitcnt vmcnt(0)
	global_atomic_cmpswap_x2 v[6:7], v0, v[6:9], s[6:7] offset:24 glc
	s_waitcnt vmcnt(0)
	buffer_gl1_inv
	buffer_gl0_inv
	v_cmpx_ne_u64_e64 v[6:7], v[8:9]
	s_cbranch_execz .LBB3_5
; %bb.2:
	v_mov_b32_e32 v1, 0
	s_mov_b32 s11, 0
	.p2align	6
.LBB3_3:                                ; =>This Inner Loop Header: Depth=1
	s_sleep 1
	s_clause 0x1
	global_load_dwordx2 v[2:3], v1, s[6:7] offset:40
	global_load_dwordx2 v[10:11], v1, s[6:7]
	v_mov_b32_e32 v9, v7
	v_mov_b32_e32 v8, v6
	s_waitcnt vmcnt(1)
	v_and_b32_e32 v2, v2, v8
	v_and_b32_e32 v3, v3, v9
	s_waitcnt vmcnt(0)
	v_mad_u64_u32 v[6:7], null, v2, 24, v[10:11]
	v_mov_b32_e32 v2, v7
	v_mad_u64_u32 v[2:3], null, v3, 24, v[2:3]
	v_mov_b32_e32 v7, v2
	global_load_dwordx2 v[6:7], v[6:7], off glc dlc
	s_waitcnt vmcnt(0)
	global_atomic_cmpswap_x2 v[6:7], v1, v[6:9], s[6:7] offset:24 glc
	s_waitcnt vmcnt(0)
	buffer_gl1_inv
	buffer_gl0_inv
	v_cmp_eq_u64_e32 vcc_lo, v[6:7], v[8:9]
	s_or_b32 s11, vcc_lo, s11
	s_andn2_b32 exec_lo, exec_lo, s11
	s_cbranch_execnz .LBB3_3
; %bb.4:
	s_or_b32 exec_lo, exec_lo, s11
.LBB3_5:
	s_or_b32 exec_lo, exec_lo, s10
.LBB3_6:
	s_or_b32 exec_lo, exec_lo, s5
	s_clause 0x1
	global_load_dwordx2 v[8:9], v0, s[6:7] offset:40
	global_load_dwordx4 v[0:3], v0, s[6:7]
	v_readfirstlane_b32 s11, v7
	v_readfirstlane_b32 s10, v6
	s_mov_b32 s5, exec_lo
	s_waitcnt vmcnt(1)
	v_readfirstlane_b32 s12, v8
	v_readfirstlane_b32 s13, v9
	s_and_b64 s[12:13], s[12:13], s[10:11]
	s_mul_i32 s14, s13, 24
	s_mul_hi_u32 s15, s12, 24
	s_mul_i32 s16, s12, 24
	s_add_i32 s15, s15, s14
	s_waitcnt vmcnt(0)
	v_add_co_u32 v10, vcc_lo, v0, s16
	v_add_co_ci_u32_e64 v11, null, s15, v1, vcc_lo
	s_and_saveexec_b32 s14, s4
	s_cbranch_execz .LBB3_8
; %bb.7:
	v_mov_b32_e32 v6, s5
	v_mov_b32_e32 v7, 0
	v_mov_b32_e32 v8, 2
	v_mov_b32_e32 v9, 1
	global_store_dwordx4 v[10:11], v[6:9], off offset:8
.LBB3_8:
	s_or_b32 exec_lo, exec_lo, s14
	s_lshl_b64 s[12:13], s[12:13], 12
	v_lshlrev_b32_e32 v33, 6, v32
	v_add_co_u32 v2, vcc_lo, v2, s12
	v_add_co_ci_u32_e64 v3, null, s13, v3, vcc_lo
	v_mov_b32_e32 v7, 0
	s_mov_b32 s12, 0
	v_add_co_u32 v12, vcc_lo, v2, v33
	s_mov_b32 s15, s12
	s_mov_b32 s13, s12
	;; [unrolled: 1-line block ×3, first 2 shown]
	v_mov_b32_e32 v6, 33
	v_mov_b32_e32 v8, 1
	;; [unrolled: 1-line block ×3, first 2 shown]
	v_readfirstlane_b32 s16, v2
	v_readfirstlane_b32 s17, v3
	v_mov_b32_e32 v17, s15
	v_add_co_ci_u32_e64 v13, null, 0, v3, vcc_lo
	v_mov_b32_e32 v16, s14
	v_mov_b32_e32 v15, s13
	;; [unrolled: 1-line block ×3, first 2 shown]
	global_store_dwordx4 v33, v[6:9], s[16:17]
	global_store_dwordx4 v33, v[14:17], s[16:17] offset:16
	global_store_dwordx4 v33, v[14:17], s[16:17] offset:32
	;; [unrolled: 1-line block ×3, first 2 shown]
	s_and_saveexec_b32 s5, s4
	s_cbranch_execz .LBB3_16
; %bb.9:
	s_clause 0x1
	global_load_dwordx2 v[16:17], v7, s[6:7] offset:32 glc dlc
	global_load_dwordx2 v[2:3], v7, s[6:7] offset:40
	v_mov_b32_e32 v14, s10
	v_mov_b32_e32 v15, s11
	s_mov_b32 s12, exec_lo
	s_waitcnt vmcnt(0)
	v_and_b32_e32 v3, s11, v3
	v_and_b32_e32 v2, s10, v2
	v_mul_lo_u32 v3, v3, 24
	v_mul_hi_u32 v6, v2, 24
	v_mul_lo_u32 v2, v2, 24
	v_add_nc_u32_e32 v3, v6, v3
	v_add_co_u32 v8, vcc_lo, v0, v2
	v_add_co_ci_u32_e64 v9, null, v1, v3, vcc_lo
	global_store_dwordx2 v[8:9], v[16:17], off
	s_waitcnt_vscnt null, 0x0
	global_atomic_cmpswap_x2 v[2:3], v7, v[14:17], s[6:7] offset:32 glc
	s_waitcnt vmcnt(0)
	v_cmpx_ne_u64_e64 v[2:3], v[16:17]
	s_cbranch_execz .LBB3_12
; %bb.10:
	v_mov_b32_e32 v6, 0
	s_mov_b32 s13, 0
.LBB3_11:                               ; =>This Inner Loop Header: Depth=1
	v_mov_b32_e32 v0, s10
	v_mov_b32_e32 v1, s11
	s_sleep 1
	global_store_dwordx2 v[8:9], v[2:3], off
	s_waitcnt_vscnt null, 0x0
	global_atomic_cmpswap_x2 v[0:1], v6, v[0:3], s[6:7] offset:32 glc
	s_waitcnt vmcnt(0)
	v_cmp_eq_u64_e32 vcc_lo, v[0:1], v[2:3]
	v_mov_b32_e32 v3, v1
	v_mov_b32_e32 v2, v0
	s_or_b32 s13, vcc_lo, s13
	s_andn2_b32 exec_lo, exec_lo, s13
	s_cbranch_execnz .LBB3_11
.LBB3_12:
	s_or_b32 exec_lo, exec_lo, s12
	v_mov_b32_e32 v3, 0
	s_mov_b32 s13, exec_lo
	s_mov_b32 s12, exec_lo
	v_mbcnt_lo_u32_b32 v2, s13, 0
	global_load_dwordx2 v[0:1], v3, s[6:7] offset:16
	v_cmpx_eq_u32_e32 0, v2
	s_cbranch_execz .LBB3_14
; %bb.13:
	s_bcnt1_i32_b32 s13, s13
	v_mov_b32_e32 v2, s13
	s_waitcnt vmcnt(0)
	global_atomic_add_x2 v[0:1], v[2:3], off offset:8
.LBB3_14:
	s_or_b32 exec_lo, exec_lo, s12
	s_waitcnt vmcnt(0)
	global_load_dwordx2 v[2:3], v[0:1], off offset:16
	s_waitcnt vmcnt(0)
	v_cmp_eq_u64_e32 vcc_lo, 0, v[2:3]
	s_cbranch_vccnz .LBB3_16
; %bb.15:
	global_load_dword v0, v[0:1], off offset:24
	v_mov_b32_e32 v1, 0
	s_waitcnt vmcnt(0)
	v_readfirstlane_b32 s12, v0
	s_waitcnt_vscnt null, 0x0
	global_store_dwordx2 v[2:3], v[0:1], off
	s_and_b32 m0, s12, 0x7fffff
	s_sendmsg sendmsg(MSG_INTERRUPT)
.LBB3_16:
	s_or_b32 exec_lo, exec_lo, s5
	s_branch .LBB3_20
	.p2align	6
.LBB3_17:                               ;   in Loop: Header=BB3_20 Depth=1
	s_or_b32 exec_lo, exec_lo, s5
	v_readfirstlane_b32 s5, v0
	s_cmp_eq_u32 s5, 0
	s_cbranch_scc1 .LBB3_19
; %bb.18:                               ;   in Loop: Header=BB3_20 Depth=1
	s_sleep 1
	s_cbranch_execnz .LBB3_20
	s_branch .LBB3_22
	.p2align	6
.LBB3_19:
	s_branch .LBB3_22
.LBB3_20:                               ; =>This Inner Loop Header: Depth=1
	v_mov_b32_e32 v0, 1
	s_and_saveexec_b32 s5, s4
	s_cbranch_execz .LBB3_17
; %bb.21:                               ;   in Loop: Header=BB3_20 Depth=1
	global_load_dword v0, v[10:11], off offset:20 glc dlc
	s_waitcnt vmcnt(0)
	buffer_gl1_inv
	buffer_gl0_inv
	v_and_b32_e32 v0, 1, v0
	s_branch .LBB3_17
.LBB3_22:
	global_load_dwordx2 v[6:7], v[12:13], off
	s_and_saveexec_b32 s12, s4
	s_cbranch_execz .LBB3_26
; %bb.23:
	v_mov_b32_e32 v10, 0
	s_clause 0x2
	global_load_dwordx2 v[0:1], v10, s[6:7] offset:40
	global_load_dwordx2 v[13:14], v10, s[6:7] offset:24 glc dlc
	global_load_dwordx2 v[2:3], v10, s[6:7]
	s_waitcnt vmcnt(2)
	v_readfirstlane_b32 s14, v0
	v_readfirstlane_b32 s15, v1
	s_add_u32 s13, s14, 1
	s_addc_u32 s16, s15, 0
	s_add_u32 s4, s13, s10
	s_addc_u32 s5, s16, s11
	s_cmp_eq_u64 s[4:5], 0
	s_cselect_b32 s5, s16, s5
	s_cselect_b32 s4, s13, s4
	v_mov_b32_e32 v12, s5
	s_and_b64 s[10:11], s[4:5], s[14:15]
	v_mov_b32_e32 v11, s4
	s_mul_i32 s11, s11, 24
	s_mul_hi_u32 s13, s10, 24
	s_mul_i32 s10, s10, 24
	s_add_i32 s13, s13, s11
	s_waitcnt vmcnt(0)
	v_add_co_u32 v8, vcc_lo, v2, s10
	v_add_co_ci_u32_e64 v9, null, s13, v3, vcc_lo
	global_store_dwordx2 v[8:9], v[13:14], off
	s_waitcnt_vscnt null, 0x0
	global_atomic_cmpswap_x2 v[2:3], v10, v[11:14], s[6:7] offset:24 glc
	s_waitcnt vmcnt(0)
	v_cmp_ne_u64_e32 vcc_lo, v[2:3], v[13:14]
	s_and_b32 exec_lo, exec_lo, vcc_lo
	s_cbranch_execz .LBB3_26
; %bb.24:
	s_mov_b32 s10, 0
.LBB3_25:                               ; =>This Inner Loop Header: Depth=1
	v_mov_b32_e32 v0, s4
	v_mov_b32_e32 v1, s5
	s_sleep 1
	global_store_dwordx2 v[8:9], v[2:3], off
	s_waitcnt_vscnt null, 0x0
	global_atomic_cmpswap_x2 v[0:1], v10, v[0:3], s[6:7] offset:24 glc
	s_waitcnt vmcnt(0)
	v_cmp_eq_u64_e32 vcc_lo, v[0:1], v[2:3]
	v_mov_b32_e32 v3, v1
	v_mov_b32_e32 v2, v0
	s_or_b32 s10, vcc_lo, s10
	s_andn2_b32 exec_lo, exec_lo, s10
	s_cbranch_execnz .LBB3_25
.LBB3_26:
	s_or_b32 exec_lo, exec_lo, s12
	s_lshr_b32 s5, s33, 5
	s_mov_b32 s4, 0
.LBB3_27:                               ; =>This Inner Loop Header: Depth=1
	v_mov_b32_e32 v0, s5
	s_add_i32 s5, s5, 1
	buffer_load_ubyte v0, v0, s[0:3], 0 offen
	s_waitcnt vmcnt(0)
	v_cmp_eq_u16_e32 vcc_lo, 0, v0
	v_mov_b32_e32 v0, s5
	s_or_b32 s4, vcc_lo, s4
	s_andn2_b32 exec_lo, exec_lo, s4
	s_cbranch_execnz .LBB3_27
; %bb.28:
	s_or_b32 exec_lo, exec_lo, s4
	s_lshr_b32 s4, s33, 5
	s_cmp_lg_u32 s4, -1
	s_cbranch_scc0 .LBB3_113
; %bb.29:
	v_lshrrev_b32_e64 v1, 5, s33
	v_and_b32_e32 v34, 2, v6
	v_mov_b32_e32 v9, 0
	v_lshrrev_b32_e64 v35, 5, s33
	v_mov_b32_e32 v10, 2
	v_subrev_nc_u32_e32 v28, v1, v0
	v_and_b32_e32 v0, -3, v6
	v_mov_b32_e32 v1, v7
	v_mov_b32_e32 v11, 1
	s_mov_b32 s15, 0
	v_ashrrev_i32_e32 v29, 31, v28
	s_mov_b32 s14, 0
	s_branch .LBB3_31
.LBB3_30:                               ;   in Loop: Header=BB3_31 Depth=1
	s_or_b32 exec_lo, exec_lo, s12
	v_sub_co_u32 v28, vcc_lo, v28, v36
	v_sub_co_ci_u32_e64 v29, null, v29, v26, vcc_lo
	v_add_nc_u32_e32 v35, v35, v36
	v_cmp_eq_u64_e32 vcc_lo, 0, v[28:29]
	s_or_b32 s14, vcc_lo, s14
	s_andn2_b32 exec_lo, exec_lo, s14
	s_cbranch_execz .LBB3_114
.LBB3_31:                               ; =>This Loop Header: Depth=1
                                        ;     Child Loop BB3_34 Depth 2
                                        ;     Child Loop BB3_42 Depth 2
	;; [unrolled: 1-line block ×11, first 2 shown]
	v_cmp_gt_u64_e32 vcc_lo, 56, v[28:29]
	v_add_nc_u32_e32 v14, 8, v35
	s_mov_b32 s5, exec_lo
	v_cndmask_b32_e32 v36, 56, v28, vcc_lo
	v_cmpx_gt_u64_e32 8, v[28:29]
	s_xor_b32 s5, exec_lo, s5
	s_cbranch_execz .LBB3_37
; %bb.32:                               ;   in Loop: Header=BB3_31 Depth=1
	v_mov_b32_e32 v2, 0
	v_mov_b32_e32 v3, 0
	s_mov_b32 s12, exec_lo
	v_cmpx_ne_u64_e32 0, v[28:29]
	s_cbranch_execz .LBB3_36
; %bb.33:                               ;   in Loop: Header=BB3_31 Depth=1
	v_mov_b32_e32 v2, 0
	v_mov_b32_e32 v3, 0
	s_mov_b64 s[10:11], 0
	s_mov_b32 s13, 0
	s_mov_b32 s16, 0
	.p2align	6
.LBB3_34:                               ;   Parent Loop BB3_31 Depth=1
                                        ; =>  This Inner Loop Header: Depth=2
	v_add_nc_u32_e32 v8, s16, v35
	v_mov_b32_e32 v13, s15
	s_add_i32 s16, s16, 1
	v_cmp_eq_u32_e64 s4, s16, v36
	buffer_load_ubyte v8, v8, s[0:3], 0 offen
	s_waitcnt vmcnt(0)
	v_and_b32_e32 v12, 0xffff, v8
	v_lshlrev_b64 v[12:13], s10, v[12:13]
	s_add_u32 s10, s10, 8
	s_addc_u32 s11, s11, 0
	s_or_b32 s13, s4, s13
	v_or_b32_e32 v3, v13, v3
	v_or_b32_e32 v2, v12, v2
	s_andn2_b32 exec_lo, exec_lo, s13
	s_cbranch_execnz .LBB3_34
; %bb.35:                               ;   in Loop: Header=BB3_31 Depth=1
	s_or_b32 exec_lo, exec_lo, s13
.LBB3_36:                               ;   in Loop: Header=BB3_31 Depth=1
	s_or_b32 exec_lo, exec_lo, s12
	v_mov_b32_e32 v14, v35
.LBB3_37:                               ;   in Loop: Header=BB3_31 Depth=1
	s_or_saveexec_b32 s4, s5
	v_mov_b32_e32 v15, 0
	s_xor_b32 exec_lo, exec_lo, s4
	s_cbranch_execz .LBB3_39
; %bb.38:                               ;   in Loop: Header=BB3_31 Depth=1
	s_clause 0x1
	buffer_load_dword v2, v35, s[0:3], 0 offen
	buffer_load_dword v3, v35, s[0:3], 0 offen offset:4
	v_add_nc_u32_e32 v15, -8, v36
.LBB3_39:                               ;   in Loop: Header=BB3_31 Depth=1
	s_or_b32 exec_lo, exec_lo, s4
	v_add_nc_u32_e32 v8, 8, v14
	s_mov_b32 s5, exec_lo
                                        ; implicit-def: $vgpr12_vgpr13
	v_cmpx_gt_u32_e32 8, v15
	s_xor_b32 s5, exec_lo, s5
	s_cbranch_execz .LBB3_45
; %bb.40:                               ;   in Loop: Header=BB3_31 Depth=1
	v_mov_b32_e32 v12, 0
	v_mov_b32_e32 v13, 0
	s_mov_b32 s12, exec_lo
	v_cmpx_ne_u32_e32 0, v15
	s_cbranch_execz .LBB3_44
; %bb.41:                               ;   in Loop: Header=BB3_31 Depth=1
	v_mov_b32_e32 v12, 0
	v_mov_b32_e32 v13, 0
	s_mov_b64 s[10:11], 0
	s_mov_b32 s13, 0
	s_mov_b32 s16, 0
	.p2align	6
.LBB3_42:                               ;   Parent Loop BB3_31 Depth=1
                                        ; =>  This Inner Loop Header: Depth=2
	v_add_nc_u32_e32 v8, s16, v14
	v_mov_b32_e32 v17, s15
	s_add_i32 s16, s16, 1
	v_cmp_eq_u32_e64 s4, s16, v15
	buffer_load_ubyte v8, v8, s[0:3], 0 offen
	s_waitcnt vmcnt(0)
	v_and_b32_e32 v16, 0xffff, v8
	v_lshlrev_b64 v[16:17], s10, v[16:17]
	s_add_u32 s10, s10, 8
	s_addc_u32 s11, s11, 0
	s_or_b32 s13, s4, s13
	v_or_b32_e32 v13, v17, v13
	v_or_b32_e32 v12, v16, v12
	s_andn2_b32 exec_lo, exec_lo, s13
	s_cbranch_execnz .LBB3_42
; %bb.43:                               ;   in Loop: Header=BB3_31 Depth=1
	s_or_b32 exec_lo, exec_lo, s13
.LBB3_44:                               ;   in Loop: Header=BB3_31 Depth=1
	s_or_b32 exec_lo, exec_lo, s12
	v_mov_b32_e32 v8, v14
                                        ; implicit-def: $vgpr15
.LBB3_45:                               ;   in Loop: Header=BB3_31 Depth=1
	s_or_saveexec_b32 s4, s5
	v_mov_b32_e32 v16, 0
	s_xor_b32 exec_lo, exec_lo, s4
	s_cbranch_execz .LBB3_47
; %bb.46:                               ;   in Loop: Header=BB3_31 Depth=1
	s_clause 0x1
	buffer_load_dword v12, v14, s[0:3], 0 offen
	buffer_load_dword v13, v14, s[0:3], 0 offen offset:4
	v_add_nc_u32_e32 v16, -8, v15
.LBB3_47:                               ;   in Loop: Header=BB3_31 Depth=1
	s_or_b32 exec_lo, exec_lo, s4
	v_add_nc_u32_e32 v18, 8, v8
	s_mov_b32 s5, exec_lo
	v_cmpx_gt_u32_e32 8, v16
	s_xor_b32 s5, exec_lo, s5
	s_cbranch_execz .LBB3_53
; %bb.48:                               ;   in Loop: Header=BB3_31 Depth=1
	v_mov_b32_e32 v14, 0
	v_mov_b32_e32 v15, 0
	s_mov_b32 s12, exec_lo
	v_cmpx_ne_u32_e32 0, v16
	s_cbranch_execz .LBB3_52
; %bb.49:                               ;   in Loop: Header=BB3_31 Depth=1
	v_mov_b32_e32 v14, 0
	v_mov_b32_e32 v15, 0
	s_mov_b64 s[10:11], 0
	s_mov_b32 s13, 0
	s_mov_b32 s16, 0
	.p2align	6
.LBB3_50:                               ;   Parent Loop BB3_31 Depth=1
                                        ; =>  This Inner Loop Header: Depth=2
	v_add_nc_u32_e32 v17, s16, v8
	v_mov_b32_e32 v18, s15
	s_add_i32 s16, s16, 1
	v_cmp_eq_u32_e64 s4, s16, v16
	buffer_load_ubyte v17, v17, s[0:3], 0 offen
	s_waitcnt vmcnt(0)
	v_and_b32_e32 v17, 0xffff, v17
	v_lshlrev_b64 v[17:18], s10, v[17:18]
	s_add_u32 s10, s10, 8
	s_addc_u32 s11, s11, 0
	s_or_b32 s13, s4, s13
	v_or_b32_e32 v15, v18, v15
	v_or_b32_e32 v14, v17, v14
	s_andn2_b32 exec_lo, exec_lo, s13
	s_cbranch_execnz .LBB3_50
; %bb.51:                               ;   in Loop: Header=BB3_31 Depth=1
	s_or_b32 exec_lo, exec_lo, s13
.LBB3_52:                               ;   in Loop: Header=BB3_31 Depth=1
	s_or_b32 exec_lo, exec_lo, s12
	v_mov_b32_e32 v18, v8
                                        ; implicit-def: $vgpr16
.LBB3_53:                               ;   in Loop: Header=BB3_31 Depth=1
	s_or_saveexec_b32 s4, s5
	v_mov_b32_e32 v19, 0
	s_xor_b32 exec_lo, exec_lo, s4
	s_cbranch_execz .LBB3_55
; %bb.54:                               ;   in Loop: Header=BB3_31 Depth=1
	s_clause 0x1
	buffer_load_dword v14, v8, s[0:3], 0 offen
	buffer_load_dword v15, v8, s[0:3], 0 offen offset:4
	v_add_nc_u32_e32 v19, -8, v16
.LBB3_55:                               ;   in Loop: Header=BB3_31 Depth=1
	s_or_b32 exec_lo, exec_lo, s4
	v_add_nc_u32_e32 v8, 8, v18
	s_mov_b32 s5, exec_lo
                                        ; implicit-def: $vgpr16_vgpr17
	v_cmpx_gt_u32_e32 8, v19
	s_xor_b32 s5, exec_lo, s5
	s_cbranch_execz .LBB3_61
; %bb.56:                               ;   in Loop: Header=BB3_31 Depth=1
	v_mov_b32_e32 v16, 0
	v_mov_b32_e32 v17, 0
	s_mov_b32 s12, exec_lo
	v_cmpx_ne_u32_e32 0, v19
	s_cbranch_execz .LBB3_60
; %bb.57:                               ;   in Loop: Header=BB3_31 Depth=1
	v_mov_b32_e32 v16, 0
	v_mov_b32_e32 v17, 0
	s_mov_b64 s[10:11], 0
	s_mov_b32 s13, 0
	s_mov_b32 s16, 0
	.p2align	6
.LBB3_58:                               ;   Parent Loop BB3_31 Depth=1
                                        ; =>  This Inner Loop Header: Depth=2
	v_add_nc_u32_e32 v8, s16, v18
	v_mov_b32_e32 v21, s15
	s_add_i32 s16, s16, 1
	v_cmp_eq_u32_e64 s4, s16, v19
	buffer_load_ubyte v8, v8, s[0:3], 0 offen
	s_waitcnt vmcnt(0)
	v_and_b32_e32 v20, 0xffff, v8
	v_lshlrev_b64 v[20:21], s10, v[20:21]
	s_add_u32 s10, s10, 8
	s_addc_u32 s11, s11, 0
	s_or_b32 s13, s4, s13
	v_or_b32_e32 v17, v21, v17
	v_or_b32_e32 v16, v20, v16
	s_andn2_b32 exec_lo, exec_lo, s13
	s_cbranch_execnz .LBB3_58
; %bb.59:                               ;   in Loop: Header=BB3_31 Depth=1
	s_or_b32 exec_lo, exec_lo, s13
.LBB3_60:                               ;   in Loop: Header=BB3_31 Depth=1
	s_or_b32 exec_lo, exec_lo, s12
	v_mov_b32_e32 v8, v18
                                        ; implicit-def: $vgpr19
.LBB3_61:                               ;   in Loop: Header=BB3_31 Depth=1
	s_or_saveexec_b32 s4, s5
	v_mov_b32_e32 v20, 0
	s_xor_b32 exec_lo, exec_lo, s4
	s_cbranch_execz .LBB3_63
; %bb.62:                               ;   in Loop: Header=BB3_31 Depth=1
	s_clause 0x1
	buffer_load_dword v16, v18, s[0:3], 0 offen
	buffer_load_dword v17, v18, s[0:3], 0 offen offset:4
	v_add_nc_u32_e32 v20, -8, v19
.LBB3_63:                               ;   in Loop: Header=BB3_31 Depth=1
	s_or_b32 exec_lo, exec_lo, s4
	v_add_nc_u32_e32 v22, 8, v8
	s_mov_b32 s5, exec_lo
	v_cmpx_gt_u32_e32 8, v20
	s_xor_b32 s5, exec_lo, s5
	s_cbranch_execz .LBB3_69
; %bb.64:                               ;   in Loop: Header=BB3_31 Depth=1
	v_mov_b32_e32 v18, 0
	v_mov_b32_e32 v19, 0
	s_mov_b32 s12, exec_lo
	v_cmpx_ne_u32_e32 0, v20
	s_cbranch_execz .LBB3_68
; %bb.65:                               ;   in Loop: Header=BB3_31 Depth=1
	v_mov_b32_e32 v18, 0
	v_mov_b32_e32 v19, 0
	s_mov_b64 s[10:11], 0
	s_mov_b32 s13, 0
	s_mov_b32 s16, 0
	.p2align	6
.LBB3_66:                               ;   Parent Loop BB3_31 Depth=1
                                        ; =>  This Inner Loop Header: Depth=2
	v_add_nc_u32_e32 v21, s16, v8
	v_mov_b32_e32 v22, s15
	s_add_i32 s16, s16, 1
	v_cmp_eq_u32_e64 s4, s16, v20
	buffer_load_ubyte v21, v21, s[0:3], 0 offen
	s_waitcnt vmcnt(0)
	v_and_b32_e32 v21, 0xffff, v21
	v_lshlrev_b64 v[21:22], s10, v[21:22]
	s_add_u32 s10, s10, 8
	s_addc_u32 s11, s11, 0
	s_or_b32 s13, s4, s13
	v_or_b32_e32 v19, v22, v19
	v_or_b32_e32 v18, v21, v18
	s_andn2_b32 exec_lo, exec_lo, s13
	s_cbranch_execnz .LBB3_66
; %bb.67:                               ;   in Loop: Header=BB3_31 Depth=1
	s_or_b32 exec_lo, exec_lo, s13
.LBB3_68:                               ;   in Loop: Header=BB3_31 Depth=1
	s_or_b32 exec_lo, exec_lo, s12
	v_mov_b32_e32 v22, v8
                                        ; implicit-def: $vgpr20
.LBB3_69:                               ;   in Loop: Header=BB3_31 Depth=1
	s_or_saveexec_b32 s4, s5
	v_mov_b32_e32 v23, 0
	s_xor_b32 exec_lo, exec_lo, s4
	s_cbranch_execz .LBB3_71
; %bb.70:                               ;   in Loop: Header=BB3_31 Depth=1
	s_clause 0x1
	buffer_load_dword v18, v8, s[0:3], 0 offen
	buffer_load_dword v19, v8, s[0:3], 0 offen offset:4
	v_add_nc_u32_e32 v23, -8, v20
.LBB3_71:                               ;   in Loop: Header=BB3_31 Depth=1
	s_or_b32 exec_lo, exec_lo, s4
	v_add_nc_u32_e32 v8, 8, v22
	s_mov_b32 s5, exec_lo
                                        ; implicit-def: $vgpr20_vgpr21
	v_cmpx_gt_u32_e32 8, v23
	s_xor_b32 s5, exec_lo, s5
	s_cbranch_execz .LBB3_77
; %bb.72:                               ;   in Loop: Header=BB3_31 Depth=1
	v_mov_b32_e32 v20, 0
	v_mov_b32_e32 v21, 0
	s_mov_b32 s12, exec_lo
	v_cmpx_ne_u32_e32 0, v23
	s_cbranch_execz .LBB3_76
; %bb.73:                               ;   in Loop: Header=BB3_31 Depth=1
	v_mov_b32_e32 v20, 0
	v_mov_b32_e32 v21, 0
	s_mov_b64 s[10:11], 0
	s_mov_b32 s13, 0
	s_mov_b32 s16, 0
	.p2align	6
.LBB3_74:                               ;   Parent Loop BB3_31 Depth=1
                                        ; =>  This Inner Loop Header: Depth=2
	v_add_nc_u32_e32 v8, s16, v22
	v_mov_b32_e32 v25, s15
	s_add_i32 s16, s16, 1
	v_cmp_eq_u32_e64 s4, s16, v23
	buffer_load_ubyte v8, v8, s[0:3], 0 offen
	s_waitcnt vmcnt(0)
	v_and_b32_e32 v24, 0xffff, v8
	v_lshlrev_b64 v[24:25], s10, v[24:25]
	s_add_u32 s10, s10, 8
	s_addc_u32 s11, s11, 0
	s_or_b32 s13, s4, s13
	v_or_b32_e32 v21, v25, v21
	v_or_b32_e32 v20, v24, v20
	s_andn2_b32 exec_lo, exec_lo, s13
	s_cbranch_execnz .LBB3_74
; %bb.75:                               ;   in Loop: Header=BB3_31 Depth=1
	s_or_b32 exec_lo, exec_lo, s13
.LBB3_76:                               ;   in Loop: Header=BB3_31 Depth=1
	s_or_b32 exec_lo, exec_lo, s12
	v_mov_b32_e32 v8, v22
                                        ; implicit-def: $vgpr23
.LBB3_77:                               ;   in Loop: Header=BB3_31 Depth=1
	s_or_saveexec_b32 s4, s5
	v_mov_b32_e32 v24, 0
	s_xor_b32 exec_lo, exec_lo, s4
	s_cbranch_execz .LBB3_79
; %bb.78:                               ;   in Loop: Header=BB3_31 Depth=1
	s_clause 0x1
	buffer_load_dword v20, v22, s[0:3], 0 offen
	buffer_load_dword v21, v22, s[0:3], 0 offen offset:4
	v_add_nc_u32_e32 v24, -8, v23
.LBB3_79:                               ;   in Loop: Header=BB3_31 Depth=1
	s_or_b32 exec_lo, exec_lo, s4
	s_mov_b32 s5, exec_lo
	v_cmpx_gt_u32_e32 8, v24
	s_xor_b32 s5, exec_lo, s5
	s_cbranch_execz .LBB3_85
; %bb.80:                               ;   in Loop: Header=BB3_31 Depth=1
	v_mov_b32_e32 v22, 0
	v_mov_b32_e32 v23, 0
	s_mov_b32 s12, exec_lo
	v_cmpx_ne_u32_e32 0, v24
	s_cbranch_execz .LBB3_84
; %bb.81:                               ;   in Loop: Header=BB3_31 Depth=1
	v_mov_b32_e32 v22, 0
	v_mov_b32_e32 v23, 0
	s_mov_b64 s[10:11], 0
	s_mov_b32 s13, 0
	.p2align	6
.LBB3_82:                               ;   Parent Loop BB3_31 Depth=1
                                        ; =>  This Inner Loop Header: Depth=2
	buffer_load_ubyte v25, v8, s[0:3], 0 offen
	v_mov_b32_e32 v26, s15
	v_add_nc_u32_e32 v24, -1, v24
	v_add_nc_u32_e32 v8, 1, v8
	v_cmp_eq_u32_e64 s4, 0, v24
	s_waitcnt vmcnt(0)
	v_and_b32_e32 v25, 0xffff, v25
	v_lshlrev_b64 v[25:26], s10, v[25:26]
	s_add_u32 s10, s10, 8
	s_addc_u32 s11, s11, 0
	s_or_b32 s13, s4, s13
	v_or_b32_e32 v23, v26, v23
	v_or_b32_e32 v22, v25, v22
	s_andn2_b32 exec_lo, exec_lo, s13
	s_cbranch_execnz .LBB3_82
; %bb.83:                               ;   in Loop: Header=BB3_31 Depth=1
	s_or_b32 exec_lo, exec_lo, s13
.LBB3_84:                               ;   in Loop: Header=BB3_31 Depth=1
	s_or_b32 exec_lo, exec_lo, s12
                                        ; implicit-def: $vgpr8
.LBB3_85:                               ;   in Loop: Header=BB3_31 Depth=1
	s_andn2_saveexec_b32 s4, s5
	s_cbranch_execz .LBB3_87
; %bb.86:                               ;   in Loop: Header=BB3_31 Depth=1
	s_clause 0x1
	buffer_load_dword v22, v8, s[0:3], 0 offen
	buffer_load_dword v23, v8, s[0:3], 0 offen offset:4
.LBB3_87:                               ;   in Loop: Header=BB3_31 Depth=1
	s_or_b32 exec_lo, exec_lo, s4
	v_readfirstlane_b32 s4, v32
	v_mov_b32_e32 v30, 0
	v_mov_b32_e32 v31, 0
	v_cmp_eq_u32_e64 s4, s4, v32
	s_and_saveexec_b32 s10, s4
	s_cbranch_execz .LBB3_93
; %bb.88:                               ;   in Loop: Header=BB3_31 Depth=1
	global_load_dwordx2 v[26:27], v9, s[6:7] offset:24 glc dlc
	s_waitcnt vmcnt(0)
	buffer_gl1_inv
	buffer_gl0_inv
	s_clause 0x1
	global_load_dwordx2 v[24:25], v9, s[6:7] offset:40
	global_load_dwordx2 v[30:31], v9, s[6:7]
	s_mov_b32 s11, exec_lo
	s_waitcnt vmcnt(1)
	v_and_b32_e32 v8, v25, v27
	v_and_b32_e32 v24, v24, v26
	v_mul_lo_u32 v8, v8, 24
	v_mul_hi_u32 v25, v24, 24
	v_mul_lo_u32 v24, v24, 24
	v_add_nc_u32_e32 v8, v25, v8
	s_waitcnt vmcnt(0)
	v_add_co_u32 v24, s5, v30, v24
	v_add_co_ci_u32_e64 v25, null, v31, v8, s5
	global_load_dwordx2 v[24:25], v[24:25], off glc dlc
	s_waitcnt vmcnt(0)
	global_atomic_cmpswap_x2 v[30:31], v9, v[24:27], s[6:7] offset:24 glc
	s_waitcnt vmcnt(0)
	buffer_gl1_inv
	buffer_gl0_inv
	v_cmpx_ne_u64_e64 v[30:31], v[26:27]
	s_cbranch_execz .LBB3_92
; %bb.89:                               ;   in Loop: Header=BB3_31 Depth=1
	s_mov_b32 s12, 0
	.p2align	6
.LBB3_90:                               ;   Parent Loop BB3_31 Depth=1
                                        ; =>  This Inner Loop Header: Depth=2
	s_sleep 1
	s_clause 0x1
	global_load_dwordx2 v[24:25], v9, s[6:7] offset:40
	global_load_dwordx2 v[37:38], v9, s[6:7]
	v_mov_b32_e32 v26, v30
	v_mov_b32_e32 v27, v31
	s_waitcnt vmcnt(1)
	v_and_b32_e32 v8, v24, v26
	v_and_b32_e32 v24, v25, v27
	s_waitcnt vmcnt(0)
	v_mad_u64_u32 v[30:31], null, v8, 24, v[37:38]
	v_mov_b32_e32 v8, v31
	v_mad_u64_u32 v[24:25], null, v24, 24, v[8:9]
	v_mov_b32_e32 v31, v24
	global_load_dwordx2 v[24:25], v[30:31], off glc dlc
	s_waitcnt vmcnt(0)
	global_atomic_cmpswap_x2 v[30:31], v9, v[24:27], s[6:7] offset:24 glc
	s_waitcnt vmcnt(0)
	buffer_gl1_inv
	buffer_gl0_inv
	v_cmp_eq_u64_e64 s5, v[30:31], v[26:27]
	s_or_b32 s12, s5, s12
	s_andn2_b32 exec_lo, exec_lo, s12
	s_cbranch_execnz .LBB3_90
; %bb.91:                               ;   in Loop: Header=BB3_31 Depth=1
	s_or_b32 exec_lo, exec_lo, s12
.LBB3_92:                               ;   in Loop: Header=BB3_31 Depth=1
	s_or_b32 exec_lo, exec_lo, s11
.LBB3_93:                               ;   in Loop: Header=BB3_31 Depth=1
	s_or_b32 exec_lo, exec_lo, s10
	s_clause 0x1
	global_load_dwordx2 v[37:38], v9, s[6:7] offset:40
	global_load_dwordx4 v[24:27], v9, s[6:7]
	v_readfirstlane_b32 s11, v31
	v_readfirstlane_b32 s10, v30
	s_mov_b32 s16, exec_lo
	s_waitcnt vmcnt(1)
	v_readfirstlane_b32 s12, v37
	v_readfirstlane_b32 s13, v38
	s_and_b64 s[12:13], s[12:13], s[10:11]
	s_mul_i32 s5, s13, 24
	s_mul_hi_u32 s17, s12, 24
	s_mul_i32 s18, s12, 24
	s_add_i32 s17, s17, s5
	s_waitcnt vmcnt(0)
	v_add_co_u32 v30, s5, v24, s18
	v_add_co_ci_u32_e64 v31, null, s17, v25, s5
	s_and_saveexec_b32 s5, s4
	s_cbranch_execz .LBB3_95
; %bb.94:                               ;   in Loop: Header=BB3_31 Depth=1
	v_mov_b32_e32 v8, s16
	global_store_dwordx4 v[30:31], v[8:11], off offset:8
.LBB3_95:                               ;   in Loop: Header=BB3_31 Depth=1
	s_or_b32 exec_lo, exec_lo, s5
	v_cmp_gt_u64_e64 s5, 57, v[28:29]
	v_and_b32_e32 v0, 0xffffff1f, v0
	s_lshl_b64 s[12:13], s[12:13], 12
	v_cndmask_b32_e64 v8, 0, v34, s5
	v_add_co_u32 v37, s5, v26, s12
	v_add_co_ci_u32_e64 v27, null, s13, v27, s5
	v_lshl_add_u32 v26, v36, 2, 28
	v_or_b32_e32 v0, v0, v8
	v_readfirstlane_b32 s12, v37
	v_readfirstlane_b32 s13, v27
	v_and_or_b32 v0, 0x1e0, v26, v0
	v_cndmask_b32_e32 v26, 0, v29, vcc_lo
	global_store_dwordx4 v33, v[12:15], s[12:13] offset:16
	global_store_dwordx4 v33, v[0:3], s[12:13]
	global_store_dwordx4 v33, v[16:19], s[12:13] offset:32
	global_store_dwordx4 v33, v[20:23], s[12:13] offset:48
	s_and_saveexec_b32 s5, s4
	s_cbranch_execz .LBB3_103
; %bb.96:                               ;   in Loop: Header=BB3_31 Depth=1
	s_clause 0x1
	global_load_dwordx2 v[16:17], v9, s[6:7] offset:32 glc dlc
	global_load_dwordx2 v[0:1], v9, s[6:7] offset:40
	v_mov_b32_e32 v14, s10
	v_mov_b32_e32 v15, s11
	s_waitcnt vmcnt(0)
	v_readfirstlane_b32 s12, v0
	v_readfirstlane_b32 s13, v1
	s_and_b64 s[12:13], s[12:13], s[10:11]
	s_mul_i32 s13, s13, 24
	s_mul_hi_u32 s16, s12, 24
	s_mul_i32 s12, s12, 24
	s_add_i32 s16, s16, s13
	v_add_co_u32 v12, vcc_lo, v24, s12
	v_add_co_ci_u32_e64 v13, null, s16, v25, vcc_lo
	s_mov_b32 s12, exec_lo
	global_store_dwordx2 v[12:13], v[16:17], off
	s_waitcnt_vscnt null, 0x0
	global_atomic_cmpswap_x2 v[2:3], v9, v[14:17], s[6:7] offset:32 glc
	s_waitcnt vmcnt(0)
	v_cmpx_ne_u64_e64 v[2:3], v[16:17]
	s_cbranch_execz .LBB3_99
; %bb.97:                               ;   in Loop: Header=BB3_31 Depth=1
	s_mov_b32 s13, 0
.LBB3_98:                               ;   Parent Loop BB3_31 Depth=1
                                        ; =>  This Inner Loop Header: Depth=2
	v_mov_b32_e32 v0, s10
	v_mov_b32_e32 v1, s11
	s_sleep 1
	global_store_dwordx2 v[12:13], v[2:3], off
	s_waitcnt_vscnt null, 0x0
	global_atomic_cmpswap_x2 v[0:1], v9, v[0:3], s[6:7] offset:32 glc
	s_waitcnt vmcnt(0)
	v_cmp_eq_u64_e32 vcc_lo, v[0:1], v[2:3]
	v_mov_b32_e32 v3, v1
	v_mov_b32_e32 v2, v0
	s_or_b32 s13, vcc_lo, s13
	s_andn2_b32 exec_lo, exec_lo, s13
	s_cbranch_execnz .LBB3_98
.LBB3_99:                               ;   in Loop: Header=BB3_31 Depth=1
	s_or_b32 exec_lo, exec_lo, s12
	global_load_dwordx2 v[0:1], v9, s[6:7] offset:16
	s_mov_b32 s13, exec_lo
	s_mov_b32 s12, exec_lo
	v_mbcnt_lo_u32_b32 v2, s13, 0
	v_cmpx_eq_u32_e32 0, v2
	s_cbranch_execz .LBB3_101
; %bb.100:                              ;   in Loop: Header=BB3_31 Depth=1
	s_bcnt1_i32_b32 s13, s13
	v_mov_b32_e32 v8, s13
	s_waitcnt vmcnt(0)
	global_atomic_add_x2 v[0:1], v[8:9], off offset:8
.LBB3_101:                              ;   in Loop: Header=BB3_31 Depth=1
	s_or_b32 exec_lo, exec_lo, s12
	s_waitcnt vmcnt(0)
	global_load_dwordx2 v[2:3], v[0:1], off offset:16
	s_waitcnt vmcnt(0)
	v_cmp_eq_u64_e32 vcc_lo, 0, v[2:3]
	s_cbranch_vccnz .LBB3_103
; %bb.102:                              ;   in Loop: Header=BB3_31 Depth=1
	global_load_dword v8, v[0:1], off offset:24
	s_waitcnt vmcnt(0)
	v_readfirstlane_b32 s12, v8
	s_waitcnt_vscnt null, 0x0
	global_store_dwordx2 v[2:3], v[8:9], off
	s_and_b32 m0, s12, 0x7fffff
	s_sendmsg sendmsg(MSG_INTERRUPT)
.LBB3_103:                              ;   in Loop: Header=BB3_31 Depth=1
	s_or_b32 exec_lo, exec_lo, s5
	v_add_co_u32 v0, vcc_lo, v37, v33
	v_add_co_ci_u32_e64 v1, null, 0, v27, vcc_lo
	s_branch .LBB3_107
	.p2align	6
.LBB3_104:                              ;   in Loop: Header=BB3_107 Depth=2
	s_or_b32 exec_lo, exec_lo, s5
	v_readfirstlane_b32 s5, v2
	s_cmp_eq_u32 s5, 0
	s_cbranch_scc1 .LBB3_106
; %bb.105:                              ;   in Loop: Header=BB3_107 Depth=2
	s_sleep 1
	s_cbranch_execnz .LBB3_107
	s_branch .LBB3_109
	.p2align	6
.LBB3_106:                              ;   in Loop: Header=BB3_31 Depth=1
	s_branch .LBB3_109
.LBB3_107:                              ;   Parent Loop BB3_31 Depth=1
                                        ; =>  This Inner Loop Header: Depth=2
	v_mov_b32_e32 v2, 1
	s_and_saveexec_b32 s5, s4
	s_cbranch_execz .LBB3_104
; %bb.108:                              ;   in Loop: Header=BB3_107 Depth=2
	global_load_dword v2, v[30:31], off offset:20 glc dlc
	s_waitcnt vmcnt(0)
	buffer_gl1_inv
	buffer_gl0_inv
	v_and_b32_e32 v2, 1, v2
	s_branch .LBB3_104
.LBB3_109:                              ;   in Loop: Header=BB3_31 Depth=1
	global_load_dwordx2 v[0:1], v[0:1], off
	s_and_saveexec_b32 s12, s4
	s_cbranch_execz .LBB3_30
; %bb.110:                              ;   in Loop: Header=BB3_31 Depth=1
	s_clause 0x2
	global_load_dwordx2 v[2:3], v9, s[6:7] offset:40
	global_load_dwordx2 v[16:17], v9, s[6:7] offset:24 glc dlc
	global_load_dwordx2 v[12:13], v9, s[6:7]
	s_waitcnt vmcnt(2)
	v_readfirstlane_b32 s16, v2
	v_readfirstlane_b32 s17, v3
	s_add_u32 s13, s16, 1
	s_addc_u32 s18, s17, 0
	s_add_u32 s4, s13, s10
	s_addc_u32 s5, s18, s11
	s_cmp_eq_u64 s[4:5], 0
	s_cselect_b32 s5, s18, s5
	s_cselect_b32 s4, s13, s4
	v_mov_b32_e32 v15, s5
	s_and_b64 s[10:11], s[4:5], s[16:17]
	v_mov_b32_e32 v14, s4
	s_mul_i32 s11, s11, 24
	s_mul_hi_u32 s13, s10, 24
	s_mul_i32 s10, s10, 24
	s_add_i32 s13, s13, s11
	s_waitcnt vmcnt(0)
	v_add_co_u32 v2, vcc_lo, v12, s10
	v_add_co_ci_u32_e64 v3, null, s13, v13, vcc_lo
	global_store_dwordx2 v[2:3], v[16:17], off
	s_waitcnt_vscnt null, 0x0
	global_atomic_cmpswap_x2 v[14:15], v9, v[14:17], s[6:7] offset:24 glc
	s_waitcnt vmcnt(0)
	v_cmp_ne_u64_e32 vcc_lo, v[14:15], v[16:17]
	s_and_b32 exec_lo, exec_lo, vcc_lo
	s_cbranch_execz .LBB3_30
; %bb.111:                              ;   in Loop: Header=BB3_31 Depth=1
	s_mov_b32 s10, 0
.LBB3_112:                              ;   Parent Loop BB3_31 Depth=1
                                        ; =>  This Inner Loop Header: Depth=2
	v_mov_b32_e32 v12, s4
	v_mov_b32_e32 v13, s5
	s_sleep 1
	global_store_dwordx2 v[2:3], v[14:15], off
	s_waitcnt_vscnt null, 0x0
	global_atomic_cmpswap_x2 v[12:13], v9, v[12:15], s[6:7] offset:24 glc
	s_waitcnt vmcnt(0)
	v_cmp_eq_u64_e32 vcc_lo, v[12:13], v[14:15]
	v_mov_b32_e32 v15, v13
	v_mov_b32_e32 v14, v12
	s_or_b32 s10, vcc_lo, s10
	s_andn2_b32 exec_lo, exec_lo, s10
	s_cbranch_execnz .LBB3_112
	s_branch .LBB3_30
.LBB3_113:
                                        ; implicit-def: $vgpr0_vgpr1
	s_cbranch_execnz .LBB3_115
	s_branch .LBB3_142
.LBB3_114:
	s_or_b32 exec_lo, exec_lo, s14
	s_branch .LBB3_142
.LBB3_115:
	v_readfirstlane_b32 s4, v32
	v_mov_b32_e32 v9, 0
	v_mov_b32_e32 v10, 0
	v_cmp_eq_u32_e64 s4, s4, v32
	s_and_saveexec_b32 s5, s4
	s_cbranch_execz .LBB3_121
; %bb.116:
	s_waitcnt vmcnt(0)
	v_mov_b32_e32 v0, 0
	s_mov_b32 s10, exec_lo
	global_load_dwordx2 v[11:12], v0, s[6:7] offset:24 glc dlc
	s_waitcnt vmcnt(0)
	buffer_gl1_inv
	buffer_gl0_inv
	s_clause 0x1
	global_load_dwordx2 v[1:2], v0, s[6:7] offset:40
	global_load_dwordx2 v[8:9], v0, s[6:7]
	s_waitcnt vmcnt(1)
	v_and_b32_e32 v2, v2, v12
	v_and_b32_e32 v1, v1, v11
	v_mul_lo_u32 v2, v2, 24
	v_mul_hi_u32 v3, v1, 24
	v_mul_lo_u32 v1, v1, 24
	v_add_nc_u32_e32 v2, v3, v2
	s_waitcnt vmcnt(0)
	v_add_co_u32 v1, vcc_lo, v8, v1
	v_add_co_ci_u32_e64 v2, null, v9, v2, vcc_lo
	global_load_dwordx2 v[9:10], v[1:2], off glc dlc
	s_waitcnt vmcnt(0)
	global_atomic_cmpswap_x2 v[9:10], v0, v[9:12], s[6:7] offset:24 glc
	s_waitcnt vmcnt(0)
	buffer_gl1_inv
	buffer_gl0_inv
	v_cmpx_ne_u64_e64 v[9:10], v[11:12]
	s_cbranch_execz .LBB3_120
; %bb.117:
	s_mov_b32 s11, 0
	.p2align	6
.LBB3_118:                              ; =>This Inner Loop Header: Depth=1
	s_sleep 1
	s_clause 0x1
	global_load_dwordx2 v[1:2], v0, s[6:7] offset:40
	global_load_dwordx2 v[13:14], v0, s[6:7]
	v_mov_b32_e32 v12, v10
	v_mov_b32_e32 v11, v9
	s_waitcnt vmcnt(1)
	v_and_b32_e32 v1, v1, v11
	v_and_b32_e32 v2, v2, v12
	s_waitcnt vmcnt(0)
	v_mad_u64_u32 v[8:9], null, v1, 24, v[13:14]
	v_mov_b32_e32 v1, v9
	v_mad_u64_u32 v[1:2], null, v2, 24, v[1:2]
	v_mov_b32_e32 v9, v1
	global_load_dwordx2 v[9:10], v[8:9], off glc dlc
	s_waitcnt vmcnt(0)
	global_atomic_cmpswap_x2 v[9:10], v0, v[9:12], s[6:7] offset:24 glc
	s_waitcnt vmcnt(0)
	buffer_gl1_inv
	buffer_gl0_inv
	v_cmp_eq_u64_e32 vcc_lo, v[9:10], v[11:12]
	s_or_b32 s11, vcc_lo, s11
	s_andn2_b32 exec_lo, exec_lo, s11
	s_cbranch_execnz .LBB3_118
; %bb.119:
	s_or_b32 exec_lo, exec_lo, s11
.LBB3_120:
	s_or_b32 exec_lo, exec_lo, s10
.LBB3_121:
	s_or_b32 exec_lo, exec_lo, s5
	v_mov_b32_e32 v8, 0
	v_readfirstlane_b32 s11, v10
	v_readfirstlane_b32 s10, v9
	s_mov_b32 s5, exec_lo
	s_clause 0x1
	global_load_dwordx2 v[11:12], v8, s[6:7] offset:40
	global_load_dwordx4 v[0:3], v8, s[6:7]
	s_waitcnt vmcnt(1)
	v_readfirstlane_b32 s12, v11
	v_readfirstlane_b32 s13, v12
	s_and_b64 s[12:13], s[12:13], s[10:11]
	s_mul_i32 s14, s13, 24
	s_mul_hi_u32 s15, s12, 24
	s_mul_i32 s16, s12, 24
	s_add_i32 s15, s15, s14
	s_waitcnt vmcnt(0)
	v_add_co_u32 v10, vcc_lo, v0, s16
	v_add_co_ci_u32_e64 v11, null, s15, v1, vcc_lo
	s_and_saveexec_b32 s14, s4
	s_cbranch_execz .LBB3_123
; %bb.122:
	v_mov_b32_e32 v12, s5
	v_mov_b32_e32 v13, v8
	;; [unrolled: 1-line block ×4, first 2 shown]
	global_store_dwordx4 v[10:11], v[12:15], off offset:8
.LBB3_123:
	s_or_b32 exec_lo, exec_lo, s14
	s_lshl_b64 s[12:13], s[12:13], 12
	v_and_or_b32 v6, 0xffffff1f, v6, 32
	v_add_co_u32 v2, vcc_lo, v2, s12
	v_add_co_ci_u32_e64 v3, null, s13, v3, vcc_lo
	s_mov_b32 s12, 0
	v_add_co_u32 v12, vcc_lo, v2, v33
	s_mov_b32 s15, s12
	s_mov_b32 s13, s12
	;; [unrolled: 1-line block ×3, first 2 shown]
	v_mov_b32_e32 v9, v8
	v_readfirstlane_b32 s16, v2
	v_readfirstlane_b32 s17, v3
	v_mov_b32_e32 v17, s15
	v_add_co_ci_u32_e64 v13, null, 0, v3, vcc_lo
	v_mov_b32_e32 v16, s14
	v_mov_b32_e32 v15, s13
	;; [unrolled: 1-line block ×3, first 2 shown]
	global_store_dwordx4 v33, v[6:9], s[16:17]
	global_store_dwordx4 v33, v[14:17], s[16:17] offset:16
	global_store_dwordx4 v33, v[14:17], s[16:17] offset:32
	;; [unrolled: 1-line block ×3, first 2 shown]
	s_and_saveexec_b32 s5, s4
	s_cbranch_execz .LBB3_131
; %bb.124:
	v_mov_b32_e32 v8, 0
	v_mov_b32_e32 v14, s10
	;; [unrolled: 1-line block ×3, first 2 shown]
	s_clause 0x1
	global_load_dwordx2 v[16:17], v8, s[6:7] offset:32 glc dlc
	global_load_dwordx2 v[2:3], v8, s[6:7] offset:40
	s_waitcnt vmcnt(0)
	v_readfirstlane_b32 s12, v2
	v_readfirstlane_b32 s13, v3
	s_and_b64 s[12:13], s[12:13], s[10:11]
	s_mul_i32 s13, s13, 24
	s_mul_hi_u32 s14, s12, 24
	s_mul_i32 s12, s12, 24
	s_add_i32 s14, s14, s13
	v_add_co_u32 v6, vcc_lo, v0, s12
	v_add_co_ci_u32_e64 v7, null, s14, v1, vcc_lo
	s_mov_b32 s12, exec_lo
	global_store_dwordx2 v[6:7], v[16:17], off
	s_waitcnt_vscnt null, 0x0
	global_atomic_cmpswap_x2 v[2:3], v8, v[14:17], s[6:7] offset:32 glc
	s_waitcnt vmcnt(0)
	v_cmpx_ne_u64_e64 v[2:3], v[16:17]
	s_cbranch_execz .LBB3_127
; %bb.125:
	s_mov_b32 s13, 0
.LBB3_126:                              ; =>This Inner Loop Header: Depth=1
	v_mov_b32_e32 v0, s10
	v_mov_b32_e32 v1, s11
	s_sleep 1
	global_store_dwordx2 v[6:7], v[2:3], off
	s_waitcnt_vscnt null, 0x0
	global_atomic_cmpswap_x2 v[0:1], v8, v[0:3], s[6:7] offset:32 glc
	s_waitcnt vmcnt(0)
	v_cmp_eq_u64_e32 vcc_lo, v[0:1], v[2:3]
	v_mov_b32_e32 v3, v1
	v_mov_b32_e32 v2, v0
	s_or_b32 s13, vcc_lo, s13
	s_andn2_b32 exec_lo, exec_lo, s13
	s_cbranch_execnz .LBB3_126
.LBB3_127:
	s_or_b32 exec_lo, exec_lo, s12
	v_mov_b32_e32 v3, 0
	s_mov_b32 s13, exec_lo
	s_mov_b32 s12, exec_lo
	v_mbcnt_lo_u32_b32 v2, s13, 0
	global_load_dwordx2 v[0:1], v3, s[6:7] offset:16
	v_cmpx_eq_u32_e32 0, v2
	s_cbranch_execz .LBB3_129
; %bb.128:
	s_bcnt1_i32_b32 s13, s13
	v_mov_b32_e32 v2, s13
	s_waitcnt vmcnt(0)
	global_atomic_add_x2 v[0:1], v[2:3], off offset:8
.LBB3_129:
	s_or_b32 exec_lo, exec_lo, s12
	s_waitcnt vmcnt(0)
	global_load_dwordx2 v[2:3], v[0:1], off offset:16
	s_waitcnt vmcnt(0)
	v_cmp_eq_u64_e32 vcc_lo, 0, v[2:3]
	s_cbranch_vccnz .LBB3_131
; %bb.130:
	global_load_dword v0, v[0:1], off offset:24
	v_mov_b32_e32 v1, 0
	s_waitcnt vmcnt(0)
	v_readfirstlane_b32 s12, v0
	s_waitcnt_vscnt null, 0x0
	global_store_dwordx2 v[2:3], v[0:1], off
	s_and_b32 m0, s12, 0x7fffff
	s_sendmsg sendmsg(MSG_INTERRUPT)
.LBB3_131:
	s_or_b32 exec_lo, exec_lo, s5
	s_branch .LBB3_135
	.p2align	6
.LBB3_132:                              ;   in Loop: Header=BB3_135 Depth=1
	s_or_b32 exec_lo, exec_lo, s5
	v_readfirstlane_b32 s5, v0
	s_cmp_eq_u32 s5, 0
	s_cbranch_scc1 .LBB3_134
; %bb.133:                              ;   in Loop: Header=BB3_135 Depth=1
	s_sleep 1
	s_cbranch_execnz .LBB3_135
	s_branch .LBB3_137
	.p2align	6
.LBB3_134:
	s_branch .LBB3_137
.LBB3_135:                              ; =>This Inner Loop Header: Depth=1
	v_mov_b32_e32 v0, 1
	s_and_saveexec_b32 s5, s4
	s_cbranch_execz .LBB3_132
; %bb.136:                              ;   in Loop: Header=BB3_135 Depth=1
	global_load_dword v0, v[10:11], off offset:20 glc dlc
	s_waitcnt vmcnt(0)
	buffer_gl1_inv
	buffer_gl0_inv
	v_and_b32_e32 v0, 1, v0
	s_branch .LBB3_132
.LBB3_137:
	global_load_dwordx2 v[0:1], v[12:13], off
	s_and_saveexec_b32 s12, s4
	s_cbranch_execz .LBB3_141
; %bb.138:
	v_mov_b32_e32 v10, 0
	s_clause 0x2
	global_load_dwordx2 v[2:3], v10, s[6:7] offset:40
	global_load_dwordx2 v[13:14], v10, s[6:7] offset:24 glc dlc
	global_load_dwordx2 v[6:7], v10, s[6:7]
	s_waitcnt vmcnt(2)
	v_readfirstlane_b32 s14, v2
	v_readfirstlane_b32 s15, v3
	s_add_u32 s13, s14, 1
	s_addc_u32 s16, s15, 0
	s_add_u32 s4, s13, s10
	s_addc_u32 s5, s16, s11
	s_cmp_eq_u64 s[4:5], 0
	s_cselect_b32 s5, s16, s5
	s_cselect_b32 s4, s13, s4
	v_mov_b32_e32 v12, s5
	s_and_b64 s[10:11], s[4:5], s[14:15]
	v_mov_b32_e32 v11, s4
	s_mul_i32 s11, s11, 24
	s_mul_hi_u32 s13, s10, 24
	s_mul_i32 s10, s10, 24
	s_add_i32 s13, s13, s11
	s_waitcnt vmcnt(0)
	v_add_co_u32 v2, vcc_lo, v6, s10
	v_add_co_ci_u32_e64 v3, null, s13, v7, vcc_lo
	global_store_dwordx2 v[2:3], v[13:14], off
	s_waitcnt_vscnt null, 0x0
	global_atomic_cmpswap_x2 v[8:9], v10, v[11:14], s[6:7] offset:24 glc
	s_waitcnt vmcnt(0)
	v_cmp_ne_u64_e32 vcc_lo, v[8:9], v[13:14]
	s_and_b32 exec_lo, exec_lo, vcc_lo
	s_cbranch_execz .LBB3_141
; %bb.139:
	s_mov_b32 s10, 0
.LBB3_140:                              ; =>This Inner Loop Header: Depth=1
	v_mov_b32_e32 v6, s4
	v_mov_b32_e32 v7, s5
	s_sleep 1
	global_store_dwordx2 v[2:3], v[8:9], off
	s_waitcnt_vscnt null, 0x0
	global_atomic_cmpswap_x2 v[6:7], v10, v[6:9], s[6:7] offset:24 glc
	s_waitcnt vmcnt(0)
	v_cmp_eq_u64_e32 vcc_lo, v[6:7], v[8:9]
	v_mov_b32_e32 v9, v7
	v_mov_b32_e32 v8, v6
	s_or_b32 s10, vcc_lo, s10
	s_andn2_b32 exec_lo, exec_lo, s10
	s_cbranch_execnz .LBB3_140
.LBB3_141:
	s_or_b32 exec_lo, exec_lo, s12
.LBB3_142:
	s_getpc_b64 s[10:11]
	s_add_u32 s10, s10, .str.5@rel32@lo+4
	s_addc_u32 s11, s11, .str.5@rel32@hi+12
	s_cmp_lg_u64 s[10:11], 0
	s_cbranch_scc0 .LBB3_220
; %bb.143:
	s_getpc_b64 s[4:5]
	s_add_u32 s4, s4, .str.5@rel32@lo+80
	s_addc_u32 s5, s5, .str.5@rel32@hi+88
	s_waitcnt vmcnt(0)
	v_and_b32_e32 v30, 2, v0
	v_mov_b32_e32 v11, 0
	v_and_b32_e32 v6, -3, v0
	v_mov_b32_e32 v7, v1
	v_mov_b32_e32 v12, 2
	;; [unrolled: 1-line block ×3, first 2 shown]
	s_sub_i32 s12, s4, s10
	s_ashr_i32 s13, s12, 31
	s_branch .LBB3_145
.LBB3_144:                              ;   in Loop: Header=BB3_145 Depth=1
	s_or_b32 exec_lo, exec_lo, s18
	s_sub_u32 s12, s12, s14
	s_subb_u32 s13, s13, s15
	s_add_u32 s10, s10, s14
	s_addc_u32 s11, s11, s15
	s_cmp_lg_u64 s[12:13], 0
	s_cbranch_scc0 .LBB3_221
.LBB3_145:                              ; =>This Loop Header: Depth=1
                                        ;     Child Loop BB3_148 Depth 2
                                        ;     Child Loop BB3_155 Depth 2
	;; [unrolled: 1-line block ×11, first 2 shown]
	v_cmp_lt_u64_e64 s4, s[12:13], 56
	v_cmp_gt_u64_e64 s16, s[12:13], 7
	s_and_b32 s4, s4, exec_lo
	s_cselect_b32 s15, s13, 0
	s_cselect_b32 s14, s12, 56
	s_add_u32 s4, s10, 8
	s_addc_u32 s5, s11, 0
	s_and_b32 vcc_lo, exec_lo, s16
	s_cbranch_vccnz .LBB3_150
; %bb.146:                              ;   in Loop: Header=BB3_145 Depth=1
	v_mov_b32_e32 v8, 0
	v_mov_b32_e32 v9, 0
	s_cmp_eq_u64 s[12:13], 0
	s_cbranch_scc1 .LBB3_149
; %bb.147:                              ;   in Loop: Header=BB3_145 Depth=1
	s_lshl_b64 s[4:5], s[14:15], 3
	s_mov_b64 s[16:17], 0
	s_mov_b64 s[18:19], s[10:11]
.LBB3_148:                              ;   Parent Loop BB3_145 Depth=1
                                        ; =>  This Inner Loop Header: Depth=2
	global_load_ubyte v2, v11, s[18:19]
	s_waitcnt vmcnt(0)
	v_and_b32_e32 v10, 0xffff, v2
	v_lshlrev_b64 v[2:3], s16, v[10:11]
	s_add_u32 s16, s16, 8
	s_addc_u32 s17, s17, 0
	s_add_u32 s18, s18, 1
	s_addc_u32 s19, s19, 0
	s_cmp_lg_u32 s4, s16
	v_or_b32_e32 v8, v2, v8
	v_or_b32_e32 v9, v3, v9
	s_cbranch_scc1 .LBB3_148
.LBB3_149:                              ;   in Loop: Header=BB3_145 Depth=1
	s_mov_b64 s[4:5], s[10:11]
	s_mov_b32 s20, 0
	s_cbranch_execz .LBB3_151
	s_branch .LBB3_152
.LBB3_150:                              ;   in Loop: Header=BB3_145 Depth=1
	s_mov_b32 s20, 0
.LBB3_151:                              ;   in Loop: Header=BB3_145 Depth=1
	global_load_dwordx2 v[8:9], v11, s[10:11]
	s_add_i32 s20, s14, -8
.LBB3_152:                              ;   in Loop: Header=BB3_145 Depth=1
	s_add_u32 s16, s4, 8
	s_addc_u32 s17, s5, 0
	s_cmp_gt_u32 s20, 7
	s_cbranch_scc1 .LBB3_157
; %bb.153:                              ;   in Loop: Header=BB3_145 Depth=1
	v_mov_b32_e32 v14, 0
	v_mov_b32_e32 v15, 0
	s_cmp_eq_u32 s20, 0
	s_cbranch_scc1 .LBB3_156
; %bb.154:                              ;   in Loop: Header=BB3_145 Depth=1
	s_mov_b64 s[16:17], 0
	s_mov_b64 s[18:19], 0
.LBB3_155:                              ;   Parent Loop BB3_145 Depth=1
                                        ; =>  This Inner Loop Header: Depth=2
	s_add_u32 s22, s4, s18
	s_addc_u32 s23, s5, s19
	s_add_u32 s18, s18, 1
	global_load_ubyte v2, v11, s[22:23]
	s_addc_u32 s19, s19, 0
	s_waitcnt vmcnt(0)
	v_and_b32_e32 v10, 0xffff, v2
	v_lshlrev_b64 v[2:3], s16, v[10:11]
	s_add_u32 s16, s16, 8
	s_addc_u32 s17, s17, 0
	s_cmp_lg_u32 s20, s18
	v_or_b32_e32 v14, v2, v14
	v_or_b32_e32 v15, v3, v15
	s_cbranch_scc1 .LBB3_155
.LBB3_156:                              ;   in Loop: Header=BB3_145 Depth=1
	s_mov_b64 s[16:17], s[4:5]
	s_mov_b32 s21, 0
	s_cbranch_execz .LBB3_158
	s_branch .LBB3_159
.LBB3_157:                              ;   in Loop: Header=BB3_145 Depth=1
                                        ; implicit-def: $vgpr14_vgpr15
	s_mov_b32 s21, 0
.LBB3_158:                              ;   in Loop: Header=BB3_145 Depth=1
	global_load_dwordx2 v[14:15], v11, s[4:5]
	s_add_i32 s21, s20, -8
.LBB3_159:                              ;   in Loop: Header=BB3_145 Depth=1
	s_add_u32 s4, s16, 8
	s_addc_u32 s5, s17, 0
	s_cmp_gt_u32 s21, 7
	s_cbranch_scc1 .LBB3_164
; %bb.160:                              ;   in Loop: Header=BB3_145 Depth=1
	v_mov_b32_e32 v16, 0
	v_mov_b32_e32 v17, 0
	s_cmp_eq_u32 s21, 0
	s_cbranch_scc1 .LBB3_163
; %bb.161:                              ;   in Loop: Header=BB3_145 Depth=1
	s_mov_b64 s[4:5], 0
	s_mov_b64 s[18:19], 0
.LBB3_162:                              ;   Parent Loop BB3_145 Depth=1
                                        ; =>  This Inner Loop Header: Depth=2
	s_add_u32 s22, s16, s18
	s_addc_u32 s23, s17, s19
	s_add_u32 s18, s18, 1
	global_load_ubyte v2, v11, s[22:23]
	s_addc_u32 s19, s19, 0
	s_waitcnt vmcnt(0)
	v_and_b32_e32 v10, 0xffff, v2
	v_lshlrev_b64 v[2:3], s4, v[10:11]
	s_add_u32 s4, s4, 8
	s_addc_u32 s5, s5, 0
	s_cmp_lg_u32 s21, s18
	v_or_b32_e32 v16, v2, v16
	v_or_b32_e32 v17, v3, v17
	s_cbranch_scc1 .LBB3_162
.LBB3_163:                              ;   in Loop: Header=BB3_145 Depth=1
	s_mov_b64 s[4:5], s[16:17]
	s_mov_b32 s20, 0
	s_cbranch_execz .LBB3_165
	s_branch .LBB3_166
.LBB3_164:                              ;   in Loop: Header=BB3_145 Depth=1
	s_mov_b32 s20, 0
.LBB3_165:                              ;   in Loop: Header=BB3_145 Depth=1
	global_load_dwordx2 v[16:17], v11, s[16:17]
	s_add_i32 s20, s21, -8
.LBB3_166:                              ;   in Loop: Header=BB3_145 Depth=1
	s_add_u32 s16, s4, 8
	s_addc_u32 s17, s5, 0
	s_cmp_gt_u32 s20, 7
	s_cbranch_scc1 .LBB3_171
; %bb.167:                              ;   in Loop: Header=BB3_145 Depth=1
	v_mov_b32_e32 v18, 0
	v_mov_b32_e32 v19, 0
	s_cmp_eq_u32 s20, 0
	s_cbranch_scc1 .LBB3_170
; %bb.168:                              ;   in Loop: Header=BB3_145 Depth=1
	s_mov_b64 s[16:17], 0
	s_mov_b64 s[18:19], 0
.LBB3_169:                              ;   Parent Loop BB3_145 Depth=1
                                        ; =>  This Inner Loop Header: Depth=2
	s_add_u32 s22, s4, s18
	s_addc_u32 s23, s5, s19
	s_add_u32 s18, s18, 1
	global_load_ubyte v2, v11, s[22:23]
	s_addc_u32 s19, s19, 0
	s_waitcnt vmcnt(0)
	v_and_b32_e32 v10, 0xffff, v2
	v_lshlrev_b64 v[2:3], s16, v[10:11]
	s_add_u32 s16, s16, 8
	s_addc_u32 s17, s17, 0
	s_cmp_lg_u32 s20, s18
	v_or_b32_e32 v18, v2, v18
	v_or_b32_e32 v19, v3, v19
	s_cbranch_scc1 .LBB3_169
.LBB3_170:                              ;   in Loop: Header=BB3_145 Depth=1
	s_mov_b64 s[16:17], s[4:5]
	s_mov_b32 s21, 0
	s_cbranch_execz .LBB3_172
	s_branch .LBB3_173
.LBB3_171:                              ;   in Loop: Header=BB3_145 Depth=1
                                        ; implicit-def: $vgpr18_vgpr19
	s_mov_b32 s21, 0
.LBB3_172:                              ;   in Loop: Header=BB3_145 Depth=1
	global_load_dwordx2 v[18:19], v11, s[4:5]
	s_add_i32 s21, s20, -8
.LBB3_173:                              ;   in Loop: Header=BB3_145 Depth=1
	s_add_u32 s4, s16, 8
	s_addc_u32 s5, s17, 0
	s_cmp_gt_u32 s21, 7
	s_cbranch_scc1 .LBB3_178
; %bb.174:                              ;   in Loop: Header=BB3_145 Depth=1
	v_mov_b32_e32 v20, 0
	v_mov_b32_e32 v21, 0
	s_cmp_eq_u32 s21, 0
	s_cbranch_scc1 .LBB3_177
; %bb.175:                              ;   in Loop: Header=BB3_145 Depth=1
	s_mov_b64 s[4:5], 0
	s_mov_b64 s[18:19], 0
.LBB3_176:                              ;   Parent Loop BB3_145 Depth=1
                                        ; =>  This Inner Loop Header: Depth=2
	s_add_u32 s22, s16, s18
	s_addc_u32 s23, s17, s19
	s_add_u32 s18, s18, 1
	global_load_ubyte v2, v11, s[22:23]
	s_addc_u32 s19, s19, 0
	s_waitcnt vmcnt(0)
	v_and_b32_e32 v10, 0xffff, v2
	v_lshlrev_b64 v[2:3], s4, v[10:11]
	s_add_u32 s4, s4, 8
	s_addc_u32 s5, s5, 0
	s_cmp_lg_u32 s21, s18
	v_or_b32_e32 v20, v2, v20
	v_or_b32_e32 v21, v3, v21
	s_cbranch_scc1 .LBB3_176
.LBB3_177:                              ;   in Loop: Header=BB3_145 Depth=1
	s_mov_b64 s[4:5], s[16:17]
	s_mov_b32 s20, 0
	s_cbranch_execz .LBB3_179
	s_branch .LBB3_180
.LBB3_178:                              ;   in Loop: Header=BB3_145 Depth=1
	s_mov_b32 s20, 0
.LBB3_179:                              ;   in Loop: Header=BB3_145 Depth=1
	global_load_dwordx2 v[20:21], v11, s[16:17]
	s_add_i32 s20, s21, -8
.LBB3_180:                              ;   in Loop: Header=BB3_145 Depth=1
	s_add_u32 s16, s4, 8
	s_addc_u32 s17, s5, 0
	s_cmp_gt_u32 s20, 7
	s_cbranch_scc1 .LBB3_185
; %bb.181:                              ;   in Loop: Header=BB3_145 Depth=1
	v_mov_b32_e32 v22, 0
	v_mov_b32_e32 v23, 0
	s_cmp_eq_u32 s20, 0
	s_cbranch_scc1 .LBB3_184
; %bb.182:                              ;   in Loop: Header=BB3_145 Depth=1
	s_mov_b64 s[16:17], 0
	s_mov_b64 s[18:19], 0
.LBB3_183:                              ;   Parent Loop BB3_145 Depth=1
                                        ; =>  This Inner Loop Header: Depth=2
	s_add_u32 s22, s4, s18
	s_addc_u32 s23, s5, s19
	s_add_u32 s18, s18, 1
	global_load_ubyte v2, v11, s[22:23]
	s_addc_u32 s19, s19, 0
	s_waitcnt vmcnt(0)
	v_and_b32_e32 v10, 0xffff, v2
	v_lshlrev_b64 v[2:3], s16, v[10:11]
	s_add_u32 s16, s16, 8
	s_addc_u32 s17, s17, 0
	s_cmp_lg_u32 s20, s18
	v_or_b32_e32 v22, v2, v22
	v_or_b32_e32 v23, v3, v23
	s_cbranch_scc1 .LBB3_183
.LBB3_184:                              ;   in Loop: Header=BB3_145 Depth=1
	s_mov_b64 s[16:17], s[4:5]
	s_mov_b32 s21, 0
	s_cbranch_execz .LBB3_186
	s_branch .LBB3_187
.LBB3_185:                              ;   in Loop: Header=BB3_145 Depth=1
                                        ; implicit-def: $vgpr22_vgpr23
	s_mov_b32 s21, 0
.LBB3_186:                              ;   in Loop: Header=BB3_145 Depth=1
	global_load_dwordx2 v[22:23], v11, s[4:5]
	s_add_i32 s21, s20, -8
.LBB3_187:                              ;   in Loop: Header=BB3_145 Depth=1
	s_cmp_gt_u32 s21, 7
	s_cbranch_scc1 .LBB3_192
; %bb.188:                              ;   in Loop: Header=BB3_145 Depth=1
	v_mov_b32_e32 v24, 0
	v_mov_b32_e32 v25, 0
	s_cmp_eq_u32 s21, 0
	s_cbranch_scc1 .LBB3_191
; %bb.189:                              ;   in Loop: Header=BB3_145 Depth=1
	s_mov_b64 s[4:5], 0
	s_mov_b64 s[18:19], s[16:17]
.LBB3_190:                              ;   Parent Loop BB3_145 Depth=1
                                        ; =>  This Inner Loop Header: Depth=2
	global_load_ubyte v2, v11, s[18:19]
	s_add_i32 s21, s21, -1
	s_waitcnt vmcnt(0)
	v_and_b32_e32 v10, 0xffff, v2
	v_lshlrev_b64 v[2:3], s4, v[10:11]
	s_add_u32 s4, s4, 8
	s_addc_u32 s5, s5, 0
	s_add_u32 s18, s18, 1
	s_addc_u32 s19, s19, 0
	s_cmp_lg_u32 s21, 0
	v_or_b32_e32 v24, v2, v24
	v_or_b32_e32 v25, v3, v25
	s_cbranch_scc1 .LBB3_190
.LBB3_191:                              ;   in Loop: Header=BB3_145 Depth=1
	s_cbranch_execz .LBB3_193
	s_branch .LBB3_194
.LBB3_192:                              ;   in Loop: Header=BB3_145 Depth=1
.LBB3_193:                              ;   in Loop: Header=BB3_145 Depth=1
	global_load_dwordx2 v[24:25], v11, s[16:17]
.LBB3_194:                              ;   in Loop: Header=BB3_145 Depth=1
	v_readfirstlane_b32 s4, v32
	v_mov_b32_e32 v2, 0
	v_mov_b32_e32 v3, 0
	v_cmp_eq_u32_e64 s4, s4, v32
	s_and_saveexec_b32 s5, s4
	s_cbranch_execz .LBB3_200
; %bb.195:                              ;   in Loop: Header=BB3_145 Depth=1
	global_load_dwordx2 v[28:29], v11, s[6:7] offset:24 glc dlc
	s_waitcnt vmcnt(0)
	buffer_gl1_inv
	buffer_gl0_inv
	s_clause 0x1
	global_load_dwordx2 v[2:3], v11, s[6:7] offset:40
	global_load_dwordx2 v[26:27], v11, s[6:7]
	s_mov_b32 s16, exec_lo
	s_waitcnt vmcnt(1)
	v_and_b32_e32 v3, v3, v29
	v_and_b32_e32 v2, v2, v28
	v_mul_lo_u32 v3, v3, 24
	v_mul_hi_u32 v10, v2, 24
	v_mul_lo_u32 v2, v2, 24
	v_add_nc_u32_e32 v3, v10, v3
	s_waitcnt vmcnt(0)
	v_add_co_u32 v2, vcc_lo, v26, v2
	v_add_co_ci_u32_e64 v3, null, v27, v3, vcc_lo
	global_load_dwordx2 v[26:27], v[2:3], off glc dlc
	s_waitcnt vmcnt(0)
	global_atomic_cmpswap_x2 v[2:3], v11, v[26:29], s[6:7] offset:24 glc
	s_waitcnt vmcnt(0)
	buffer_gl1_inv
	buffer_gl0_inv
	v_cmpx_ne_u64_e64 v[2:3], v[28:29]
	s_cbranch_execz .LBB3_199
; %bb.196:                              ;   in Loop: Header=BB3_145 Depth=1
	s_mov_b32 s17, 0
	.p2align	6
.LBB3_197:                              ;   Parent Loop BB3_145 Depth=1
                                        ; =>  This Inner Loop Header: Depth=2
	s_sleep 1
	s_clause 0x1
	global_load_dwordx2 v[26:27], v11, s[6:7] offset:40
	global_load_dwordx2 v[34:35], v11, s[6:7]
	v_mov_b32_e32 v29, v3
	v_mov_b32_e32 v28, v2
	s_waitcnt vmcnt(1)
	v_and_b32_e32 v2, v26, v28
	v_and_b32_e32 v10, v27, v29
	s_waitcnt vmcnt(0)
	v_mad_u64_u32 v[2:3], null, v2, 24, v[34:35]
	v_mad_u64_u32 v[26:27], null, v10, 24, v[3:4]
	v_mov_b32_e32 v3, v26
	global_load_dwordx2 v[26:27], v[2:3], off glc dlc
	s_waitcnt vmcnt(0)
	global_atomic_cmpswap_x2 v[2:3], v11, v[26:29], s[6:7] offset:24 glc
	s_waitcnt vmcnt(0)
	buffer_gl1_inv
	buffer_gl0_inv
	v_cmp_eq_u64_e32 vcc_lo, v[2:3], v[28:29]
	s_or_b32 s17, vcc_lo, s17
	s_andn2_b32 exec_lo, exec_lo, s17
	s_cbranch_execnz .LBB3_197
; %bb.198:                              ;   in Loop: Header=BB3_145 Depth=1
	s_or_b32 exec_lo, exec_lo, s17
.LBB3_199:                              ;   in Loop: Header=BB3_145 Depth=1
	s_or_b32 exec_lo, exec_lo, s16
.LBB3_200:                              ;   in Loop: Header=BB3_145 Depth=1
	s_or_b32 exec_lo, exec_lo, s5
	s_clause 0x1
	global_load_dwordx2 v[34:35], v11, s[6:7] offset:40
	global_load_dwordx4 v[26:29], v11, s[6:7]
	v_readfirstlane_b32 s17, v3
	v_readfirstlane_b32 s16, v2
	s_mov_b32 s5, exec_lo
	s_waitcnt vmcnt(1)
	v_readfirstlane_b32 s18, v34
	v_readfirstlane_b32 s19, v35
	s_and_b64 s[18:19], s[18:19], s[16:17]
	s_mul_i32 s20, s19, 24
	s_mul_hi_u32 s21, s18, 24
	s_mul_i32 s22, s18, 24
	s_add_i32 s21, s21, s20
	s_waitcnt vmcnt(0)
	v_add_co_u32 v2, vcc_lo, v26, s22
	v_add_co_ci_u32_e64 v3, null, s21, v27, vcc_lo
	s_and_saveexec_b32 s20, s4
	s_cbranch_execz .LBB3_202
; %bb.201:                              ;   in Loop: Header=BB3_145 Depth=1
	v_mov_b32_e32 v10, s5
	global_store_dwordx4 v[2:3], v[10:13], off offset:8
.LBB3_202:                              ;   in Loop: Header=BB3_145 Depth=1
	s_or_b32 exec_lo, exec_lo, s20
	v_cmp_lt_u64_e64 vcc_lo, s[12:13], 57
	s_lshl_b64 s[18:19], s[18:19], 12
	v_and_b32_e32 v6, 0xffffff1f, v6
	s_lshl_b32 s5, s14, 2
	s_add_i32 s5, s5, 28
	v_cndmask_b32_e32 v10, 0, v30, vcc_lo
	v_add_co_u32 v28, vcc_lo, v28, s18
	v_add_co_ci_u32_e64 v29, null, s19, v29, vcc_lo
	v_or_b32_e32 v6, v6, v10
	v_readfirstlane_b32 s18, v28
	v_readfirstlane_b32 s19, v29
	v_and_or_b32 v6, 0x1e0, s5, v6
	global_store_dwordx4 v33, v[14:17], s[18:19] offset:16
	global_store_dwordx4 v33, v[6:9], s[18:19]
	global_store_dwordx4 v33, v[18:21], s[18:19] offset:32
	global_store_dwordx4 v33, v[22:25], s[18:19] offset:48
	s_and_saveexec_b32 s5, s4
	s_cbranch_execz .LBB3_210
; %bb.203:                              ;   in Loop: Header=BB3_145 Depth=1
	s_clause 0x1
	global_load_dwordx2 v[18:19], v11, s[6:7] offset:32 glc dlc
	global_load_dwordx2 v[6:7], v11, s[6:7] offset:40
	v_mov_b32_e32 v16, s16
	v_mov_b32_e32 v17, s17
	s_waitcnt vmcnt(0)
	v_readfirstlane_b32 s18, v6
	v_readfirstlane_b32 s19, v7
	s_and_b64 s[18:19], s[18:19], s[16:17]
	s_mul_i32 s19, s19, 24
	s_mul_hi_u32 s20, s18, 24
	s_mul_i32 s18, s18, 24
	s_add_i32 s20, s20, s19
	v_add_co_u32 v14, vcc_lo, v26, s18
	v_add_co_ci_u32_e64 v15, null, s20, v27, vcc_lo
	s_mov_b32 s18, exec_lo
	global_store_dwordx2 v[14:15], v[18:19], off
	s_waitcnt_vscnt null, 0x0
	global_atomic_cmpswap_x2 v[8:9], v11, v[16:19], s[6:7] offset:32 glc
	s_waitcnt vmcnt(0)
	v_cmpx_ne_u64_e64 v[8:9], v[18:19]
	s_cbranch_execz .LBB3_206
; %bb.204:                              ;   in Loop: Header=BB3_145 Depth=1
	s_mov_b32 s19, 0
.LBB3_205:                              ;   Parent Loop BB3_145 Depth=1
                                        ; =>  This Inner Loop Header: Depth=2
	v_mov_b32_e32 v6, s16
	v_mov_b32_e32 v7, s17
	s_sleep 1
	global_store_dwordx2 v[14:15], v[8:9], off
	s_waitcnt_vscnt null, 0x0
	global_atomic_cmpswap_x2 v[6:7], v11, v[6:9], s[6:7] offset:32 glc
	s_waitcnt vmcnt(0)
	v_cmp_eq_u64_e32 vcc_lo, v[6:7], v[8:9]
	v_mov_b32_e32 v9, v7
	v_mov_b32_e32 v8, v6
	s_or_b32 s19, vcc_lo, s19
	s_andn2_b32 exec_lo, exec_lo, s19
	s_cbranch_execnz .LBB3_205
.LBB3_206:                              ;   in Loop: Header=BB3_145 Depth=1
	s_or_b32 exec_lo, exec_lo, s18
	global_load_dwordx2 v[6:7], v11, s[6:7] offset:16
	s_mov_b32 s19, exec_lo
	s_mov_b32 s18, exec_lo
	v_mbcnt_lo_u32_b32 v8, s19, 0
	v_cmpx_eq_u32_e32 0, v8
	s_cbranch_execz .LBB3_208
; %bb.207:                              ;   in Loop: Header=BB3_145 Depth=1
	s_bcnt1_i32_b32 s19, s19
	v_mov_b32_e32 v10, s19
	s_waitcnt vmcnt(0)
	global_atomic_add_x2 v[6:7], v[10:11], off offset:8
.LBB3_208:                              ;   in Loop: Header=BB3_145 Depth=1
	s_or_b32 exec_lo, exec_lo, s18
	s_waitcnt vmcnt(0)
	global_load_dwordx2 v[8:9], v[6:7], off offset:16
	s_waitcnt vmcnt(0)
	v_cmp_eq_u64_e32 vcc_lo, 0, v[8:9]
	s_cbranch_vccnz .LBB3_210
; %bb.209:                              ;   in Loop: Header=BB3_145 Depth=1
	global_load_dword v10, v[6:7], off offset:24
	s_waitcnt vmcnt(0)
	v_readfirstlane_b32 s18, v10
	s_waitcnt_vscnt null, 0x0
	global_store_dwordx2 v[8:9], v[10:11], off
	s_and_b32 m0, s18, 0x7fffff
	s_sendmsg sendmsg(MSG_INTERRUPT)
.LBB3_210:                              ;   in Loop: Header=BB3_145 Depth=1
	s_or_b32 exec_lo, exec_lo, s5
	v_add_co_u32 v6, vcc_lo, v28, v33
	v_add_co_ci_u32_e64 v7, null, 0, v29, vcc_lo
	s_branch .LBB3_214
	.p2align	6
.LBB3_211:                              ;   in Loop: Header=BB3_214 Depth=2
	s_or_b32 exec_lo, exec_lo, s5
	v_readfirstlane_b32 s5, v8
	s_cmp_eq_u32 s5, 0
	s_cbranch_scc1 .LBB3_213
; %bb.212:                              ;   in Loop: Header=BB3_214 Depth=2
	s_sleep 1
	s_cbranch_execnz .LBB3_214
	s_branch .LBB3_216
	.p2align	6
.LBB3_213:                              ;   in Loop: Header=BB3_145 Depth=1
	s_branch .LBB3_216
.LBB3_214:                              ;   Parent Loop BB3_145 Depth=1
                                        ; =>  This Inner Loop Header: Depth=2
	v_mov_b32_e32 v8, 1
	s_and_saveexec_b32 s5, s4
	s_cbranch_execz .LBB3_211
; %bb.215:                              ;   in Loop: Header=BB3_214 Depth=2
	global_load_dword v8, v[2:3], off offset:20 glc dlc
	s_waitcnt vmcnt(0)
	buffer_gl1_inv
	buffer_gl0_inv
	v_and_b32_e32 v8, 1, v8
	s_branch .LBB3_211
.LBB3_216:                              ;   in Loop: Header=BB3_145 Depth=1
	global_load_dwordx2 v[6:7], v[6:7], off
	s_and_saveexec_b32 s18, s4
	s_cbranch_execz .LBB3_144
; %bb.217:                              ;   in Loop: Header=BB3_145 Depth=1
	s_clause 0x2
	global_load_dwordx2 v[2:3], v11, s[6:7] offset:40
	global_load_dwordx2 v[18:19], v11, s[6:7] offset:24 glc dlc
	global_load_dwordx2 v[8:9], v11, s[6:7]
	s_waitcnt vmcnt(2)
	v_readfirstlane_b32 s20, v2
	v_readfirstlane_b32 s21, v3
	s_add_u32 s19, s20, 1
	s_addc_u32 s22, s21, 0
	s_add_u32 s4, s19, s16
	s_addc_u32 s5, s22, s17
	s_cmp_eq_u64 s[4:5], 0
	s_cselect_b32 s5, s22, s5
	s_cselect_b32 s4, s19, s4
	v_mov_b32_e32 v17, s5
	s_and_b64 s[16:17], s[4:5], s[20:21]
	v_mov_b32_e32 v16, s4
	s_mul_i32 s17, s17, 24
	s_mul_hi_u32 s19, s16, 24
	s_mul_i32 s16, s16, 24
	s_add_i32 s19, s19, s17
	s_waitcnt vmcnt(0)
	v_add_co_u32 v2, vcc_lo, v8, s16
	v_add_co_ci_u32_e64 v3, null, s19, v9, vcc_lo
	global_store_dwordx2 v[2:3], v[18:19], off
	s_waitcnt_vscnt null, 0x0
	global_atomic_cmpswap_x2 v[16:17], v11, v[16:19], s[6:7] offset:24 glc
	s_waitcnt vmcnt(0)
	v_cmp_ne_u64_e32 vcc_lo, v[16:17], v[18:19]
	s_and_b32 exec_lo, exec_lo, vcc_lo
	s_cbranch_execz .LBB3_144
; %bb.218:                              ;   in Loop: Header=BB3_145 Depth=1
	s_mov_b32 s16, 0
.LBB3_219:                              ;   Parent Loop BB3_145 Depth=1
                                        ; =>  This Inner Loop Header: Depth=2
	v_mov_b32_e32 v14, s4
	v_mov_b32_e32 v15, s5
	s_sleep 1
	global_store_dwordx2 v[2:3], v[16:17], off
	s_waitcnt_vscnt null, 0x0
	global_atomic_cmpswap_x2 v[8:9], v11, v[14:17], s[6:7] offset:24 glc
	s_waitcnt vmcnt(0)
	v_cmp_eq_u64_e32 vcc_lo, v[8:9], v[16:17]
	v_mov_b32_e32 v17, v9
	v_mov_b32_e32 v16, v8
	s_or_b32 s16, vcc_lo, s16
	s_andn2_b32 exec_lo, exec_lo, s16
	s_cbranch_execnz .LBB3_219
	s_branch .LBB3_144
.LBB3_220:
                                        ; implicit-def: $vgpr6_vgpr7
	s_cbranch_execnz .LBB3_222
	s_branch .LBB3_249
.LBB3_221:
	s_branch .LBB3_249
.LBB3_222:
	v_readfirstlane_b32 s4, v32
	v_mov_b32_e32 v10, 0
	v_mov_b32_e32 v11, 0
	v_cmp_eq_u32_e64 s4, s4, v32
	s_and_saveexec_b32 s5, s4
	s_cbranch_execz .LBB3_228
; %bb.223:
	v_mov_b32_e32 v2, 0
	s_mov_b32 s10, exec_lo
	global_load_dwordx2 v[8:9], v2, s[6:7] offset:24 glc dlc
	s_waitcnt vmcnt(0)
	buffer_gl1_inv
	buffer_gl0_inv
	s_clause 0x1
	global_load_dwordx2 v[6:7], v2, s[6:7] offset:40
	global_load_dwordx2 v[10:11], v2, s[6:7]
	s_waitcnt vmcnt(1)
	v_and_b32_e32 v3, v7, v9
	v_and_b32_e32 v6, v6, v8
	v_mul_lo_u32 v3, v3, 24
	v_mul_hi_u32 v7, v6, 24
	v_mul_lo_u32 v6, v6, 24
	v_add_nc_u32_e32 v3, v7, v3
	s_waitcnt vmcnt(0)
	v_add_co_u32 v6, vcc_lo, v10, v6
	v_add_co_ci_u32_e64 v7, null, v11, v3, vcc_lo
	global_load_dwordx2 v[6:7], v[6:7], off glc dlc
	s_waitcnt vmcnt(0)
	global_atomic_cmpswap_x2 v[10:11], v2, v[6:9], s[6:7] offset:24 glc
	s_waitcnt vmcnt(0)
	buffer_gl1_inv
	buffer_gl0_inv
	v_cmpx_ne_u64_e64 v[10:11], v[8:9]
	s_cbranch_execz .LBB3_227
; %bb.224:
	s_mov_b32 s11, 0
	.p2align	6
.LBB3_225:                              ; =>This Inner Loop Header: Depth=1
	s_sleep 1
	s_clause 0x1
	global_load_dwordx2 v[6:7], v2, s[6:7] offset:40
	global_load_dwordx2 v[12:13], v2, s[6:7]
	v_mov_b32_e32 v8, v10
	v_mov_b32_e32 v9, v11
	s_waitcnt vmcnt(1)
	v_and_b32_e32 v3, v6, v8
	v_and_b32_e32 v6, v7, v9
	s_waitcnt vmcnt(0)
	v_mad_u64_u32 v[10:11], null, v3, 24, v[12:13]
	v_mov_b32_e32 v3, v11
	v_mad_u64_u32 v[6:7], null, v6, 24, v[3:4]
	v_mov_b32_e32 v11, v6
	global_load_dwordx2 v[6:7], v[10:11], off glc dlc
	s_waitcnt vmcnt(0)
	global_atomic_cmpswap_x2 v[10:11], v2, v[6:9], s[6:7] offset:24 glc
	s_waitcnt vmcnt(0)
	buffer_gl1_inv
	buffer_gl0_inv
	v_cmp_eq_u64_e32 vcc_lo, v[10:11], v[8:9]
	s_or_b32 s11, vcc_lo, s11
	s_andn2_b32 exec_lo, exec_lo, s11
	s_cbranch_execnz .LBB3_225
; %bb.226:
	s_or_b32 exec_lo, exec_lo, s11
.LBB3_227:
	s_or_b32 exec_lo, exec_lo, s10
.LBB3_228:
	s_or_b32 exec_lo, exec_lo, s5
	v_mov_b32_e32 v2, 0
	v_readfirstlane_b32 s11, v11
	v_readfirstlane_b32 s10, v10
	s_mov_b32 s5, exec_lo
	s_clause 0x1
	global_load_dwordx2 v[12:13], v2, s[6:7] offset:40
	global_load_dwordx4 v[6:9], v2, s[6:7]
	s_waitcnt vmcnt(1)
	v_readfirstlane_b32 s12, v12
	v_readfirstlane_b32 s13, v13
	s_and_b64 s[12:13], s[12:13], s[10:11]
	s_mul_i32 s14, s13, 24
	s_mul_hi_u32 s15, s12, 24
	s_mul_i32 s16, s12, 24
	s_add_i32 s15, s15, s14
	s_waitcnt vmcnt(0)
	v_add_co_u32 v10, vcc_lo, v6, s16
	v_add_co_ci_u32_e64 v11, null, s15, v7, vcc_lo
	s_and_saveexec_b32 s14, s4
	s_cbranch_execz .LBB3_230
; %bb.229:
	v_mov_b32_e32 v12, s5
	v_mov_b32_e32 v13, v2
	;; [unrolled: 1-line block ×4, first 2 shown]
	global_store_dwordx4 v[10:11], v[12:15], off offset:8
.LBB3_230:
	s_or_b32 exec_lo, exec_lo, s14
	s_lshl_b64 s[12:13], s[12:13], 12
	v_and_or_b32 v0, 0xffffff1f, v0, 32
	v_add_co_u32 v8, vcc_lo, v8, s12
	v_add_co_ci_u32_e64 v9, null, s13, v9, vcc_lo
	s_mov_b32 s12, 0
	v_readfirstlane_b32 s16, v8
	v_add_co_u32 v8, vcc_lo, v8, v33
	s_mov_b32 s13, s12
	s_mov_b32 s14, s12
	;; [unrolled: 1-line block ×3, first 2 shown]
	v_mov_b32_e32 v3, v2
	v_readfirstlane_b32 s17, v9
	v_mov_b32_e32 v12, s12
	v_add_co_ci_u32_e64 v9, null, 0, v9, vcc_lo
	v_mov_b32_e32 v13, s13
	v_mov_b32_e32 v14, s14
	;; [unrolled: 1-line block ×3, first 2 shown]
	global_store_dwordx4 v33, v[0:3], s[16:17]
	global_store_dwordx4 v33, v[12:15], s[16:17] offset:16
	global_store_dwordx4 v33, v[12:15], s[16:17] offset:32
	;; [unrolled: 1-line block ×3, first 2 shown]
	s_and_saveexec_b32 s5, s4
	s_cbranch_execz .LBB3_238
; %bb.231:
	v_mov_b32_e32 v12, 0
	v_mov_b32_e32 v13, s10
	;; [unrolled: 1-line block ×3, first 2 shown]
	s_clause 0x1
	global_load_dwordx2 v[15:16], v12, s[6:7] offset:32 glc dlc
	global_load_dwordx2 v[0:1], v12, s[6:7] offset:40
	s_waitcnt vmcnt(0)
	v_readfirstlane_b32 s12, v0
	v_readfirstlane_b32 s13, v1
	s_and_b64 s[12:13], s[12:13], s[10:11]
	s_mul_i32 s13, s13, 24
	s_mul_hi_u32 s14, s12, 24
	s_mul_i32 s12, s12, 24
	s_add_i32 s14, s14, s13
	v_add_co_u32 v6, vcc_lo, v6, s12
	v_add_co_ci_u32_e64 v7, null, s14, v7, vcc_lo
	s_mov_b32 s12, exec_lo
	global_store_dwordx2 v[6:7], v[15:16], off
	s_waitcnt_vscnt null, 0x0
	global_atomic_cmpswap_x2 v[2:3], v12, v[13:16], s[6:7] offset:32 glc
	s_waitcnt vmcnt(0)
	v_cmpx_ne_u64_e64 v[2:3], v[15:16]
	s_cbranch_execz .LBB3_234
; %bb.232:
	s_mov_b32 s13, 0
.LBB3_233:                              ; =>This Inner Loop Header: Depth=1
	v_mov_b32_e32 v0, s10
	v_mov_b32_e32 v1, s11
	s_sleep 1
	global_store_dwordx2 v[6:7], v[2:3], off
	s_waitcnt_vscnt null, 0x0
	global_atomic_cmpswap_x2 v[0:1], v12, v[0:3], s[6:7] offset:32 glc
	s_waitcnt vmcnt(0)
	v_cmp_eq_u64_e32 vcc_lo, v[0:1], v[2:3]
	v_mov_b32_e32 v3, v1
	v_mov_b32_e32 v2, v0
	s_or_b32 s13, vcc_lo, s13
	s_andn2_b32 exec_lo, exec_lo, s13
	s_cbranch_execnz .LBB3_233
.LBB3_234:
	s_or_b32 exec_lo, exec_lo, s12
	v_mov_b32_e32 v3, 0
	s_mov_b32 s13, exec_lo
	s_mov_b32 s12, exec_lo
	v_mbcnt_lo_u32_b32 v2, s13, 0
	global_load_dwordx2 v[0:1], v3, s[6:7] offset:16
	v_cmpx_eq_u32_e32 0, v2
	s_cbranch_execz .LBB3_236
; %bb.235:
	s_bcnt1_i32_b32 s13, s13
	v_mov_b32_e32 v2, s13
	s_waitcnt vmcnt(0)
	global_atomic_add_x2 v[0:1], v[2:3], off offset:8
.LBB3_236:
	s_or_b32 exec_lo, exec_lo, s12
	s_waitcnt vmcnt(0)
	global_load_dwordx2 v[2:3], v[0:1], off offset:16
	s_waitcnt vmcnt(0)
	v_cmp_eq_u64_e32 vcc_lo, 0, v[2:3]
	s_cbranch_vccnz .LBB3_238
; %bb.237:
	global_load_dword v0, v[0:1], off offset:24
	v_mov_b32_e32 v1, 0
	s_waitcnt vmcnt(0)
	v_readfirstlane_b32 s12, v0
	s_waitcnt_vscnt null, 0x0
	global_store_dwordx2 v[2:3], v[0:1], off
	s_and_b32 m0, s12, 0x7fffff
	s_sendmsg sendmsg(MSG_INTERRUPT)
.LBB3_238:
	s_or_b32 exec_lo, exec_lo, s5
	s_branch .LBB3_242
	.p2align	6
.LBB3_239:                              ;   in Loop: Header=BB3_242 Depth=1
	s_or_b32 exec_lo, exec_lo, s5
	v_readfirstlane_b32 s5, v0
	s_cmp_eq_u32 s5, 0
	s_cbranch_scc1 .LBB3_241
; %bb.240:                              ;   in Loop: Header=BB3_242 Depth=1
	s_sleep 1
	s_cbranch_execnz .LBB3_242
	s_branch .LBB3_244
	.p2align	6
.LBB3_241:
	s_branch .LBB3_244
.LBB3_242:                              ; =>This Inner Loop Header: Depth=1
	v_mov_b32_e32 v0, 1
	s_and_saveexec_b32 s5, s4
	s_cbranch_execz .LBB3_239
; %bb.243:                              ;   in Loop: Header=BB3_242 Depth=1
	global_load_dword v0, v[10:11], off offset:20 glc dlc
	s_waitcnt vmcnt(0)
	buffer_gl1_inv
	buffer_gl0_inv
	v_and_b32_e32 v0, 1, v0
	s_branch .LBB3_239
.LBB3_244:
	global_load_dwordx2 v[6:7], v[8:9], off
	s_and_saveexec_b32 s12, s4
	s_cbranch_execz .LBB3_248
; %bb.245:
	v_mov_b32_e32 v10, 0
	s_clause 0x2
	global_load_dwordx2 v[0:1], v10, s[6:7] offset:40
	global_load_dwordx2 v[13:14], v10, s[6:7] offset:24 glc dlc
	global_load_dwordx2 v[2:3], v10, s[6:7]
	s_waitcnt vmcnt(2)
	v_readfirstlane_b32 s14, v0
	v_readfirstlane_b32 s15, v1
	s_add_u32 s13, s14, 1
	s_addc_u32 s16, s15, 0
	s_add_u32 s4, s13, s10
	s_addc_u32 s5, s16, s11
	s_cmp_eq_u64 s[4:5], 0
	s_cselect_b32 s5, s16, s5
	s_cselect_b32 s4, s13, s4
	v_mov_b32_e32 v12, s5
	s_and_b64 s[10:11], s[4:5], s[14:15]
	v_mov_b32_e32 v11, s4
	s_mul_i32 s11, s11, 24
	s_mul_hi_u32 s13, s10, 24
	s_mul_i32 s10, s10, 24
	s_add_i32 s13, s13, s11
	s_waitcnt vmcnt(0)
	v_add_co_u32 v8, vcc_lo, v2, s10
	v_add_co_ci_u32_e64 v9, null, s13, v3, vcc_lo
	global_store_dwordx2 v[8:9], v[13:14], off
	s_waitcnt_vscnt null, 0x0
	global_atomic_cmpswap_x2 v[2:3], v10, v[11:14], s[6:7] offset:24 glc
	s_waitcnt vmcnt(0)
	v_cmp_ne_u64_e32 vcc_lo, v[2:3], v[13:14]
	s_and_b32 exec_lo, exec_lo, vcc_lo
	s_cbranch_execz .LBB3_248
; %bb.246:
	s_mov_b32 s10, 0
.LBB3_247:                              ; =>This Inner Loop Header: Depth=1
	v_mov_b32_e32 v0, s4
	v_mov_b32_e32 v1, s5
	s_sleep 1
	global_store_dwordx2 v[8:9], v[2:3], off
	s_waitcnt_vscnt null, 0x0
	global_atomic_cmpswap_x2 v[0:1], v10, v[0:3], s[6:7] offset:24 glc
	s_waitcnt vmcnt(0)
	v_cmp_eq_u64_e32 vcc_lo, v[0:1], v[2:3]
	v_mov_b32_e32 v3, v1
	v_mov_b32_e32 v2, v0
	s_or_b32 s10, vcc_lo, s10
	s_andn2_b32 exec_lo, exec_lo, s10
	s_cbranch_execnz .LBB3_247
.LBB3_248:
	s_or_b32 exec_lo, exec_lo, s12
.LBB3_249:
	v_readfirstlane_b32 s4, v32
	v_mov_b32_e32 v10, 0
	v_mov_b32_e32 v11, 0
	v_cmp_eq_u32_e64 s4, s4, v32
	s_and_saveexec_b32 s5, s4
	s_cbranch_execz .LBB3_255
; %bb.250:
	s_waitcnt vmcnt(0)
	v_mov_b32_e32 v0, 0
	s_mov_b32 s10, exec_lo
	global_load_dwordx2 v[12:13], v0, s[6:7] offset:24 glc dlc
	s_waitcnt vmcnt(0)
	buffer_gl1_inv
	buffer_gl0_inv
	s_clause 0x1
	global_load_dwordx2 v[1:2], v0, s[6:7] offset:40
	global_load_dwordx2 v[8:9], v0, s[6:7]
	s_waitcnt vmcnt(1)
	v_and_b32_e32 v2, v2, v13
	v_and_b32_e32 v1, v1, v12
	v_mul_lo_u32 v2, v2, 24
	v_mul_hi_u32 v3, v1, 24
	v_mul_lo_u32 v1, v1, 24
	v_add_nc_u32_e32 v2, v3, v2
	s_waitcnt vmcnt(0)
	v_add_co_u32 v1, vcc_lo, v8, v1
	v_add_co_ci_u32_e64 v2, null, v9, v2, vcc_lo
	global_load_dwordx2 v[10:11], v[1:2], off glc dlc
	s_waitcnt vmcnt(0)
	global_atomic_cmpswap_x2 v[10:11], v0, v[10:13], s[6:7] offset:24 glc
	s_waitcnt vmcnt(0)
	buffer_gl1_inv
	buffer_gl0_inv
	v_cmpx_ne_u64_e64 v[10:11], v[12:13]
	s_cbranch_execz .LBB3_254
; %bb.251:
	s_mov_b32 s11, 0
	.p2align	6
.LBB3_252:                              ; =>This Inner Loop Header: Depth=1
	s_sleep 1
	s_clause 0x1
	global_load_dwordx2 v[1:2], v0, s[6:7] offset:40
	global_load_dwordx2 v[8:9], v0, s[6:7]
	v_mov_b32_e32 v13, v11
	v_mov_b32_e32 v12, v10
	s_waitcnt vmcnt(1)
	v_and_b32_e32 v1, v1, v12
	v_and_b32_e32 v2, v2, v13
	s_waitcnt vmcnt(0)
	v_mad_u64_u32 v[8:9], null, v1, 24, v[8:9]
	v_mov_b32_e32 v1, v9
	v_mad_u64_u32 v[1:2], null, v2, 24, v[1:2]
	v_mov_b32_e32 v9, v1
	global_load_dwordx2 v[10:11], v[8:9], off glc dlc
	s_waitcnt vmcnt(0)
	global_atomic_cmpswap_x2 v[10:11], v0, v[10:13], s[6:7] offset:24 glc
	s_waitcnt vmcnt(0)
	buffer_gl1_inv
	buffer_gl0_inv
	v_cmp_eq_u64_e32 vcc_lo, v[10:11], v[12:13]
	s_or_b32 s11, vcc_lo, s11
	s_andn2_b32 exec_lo, exec_lo, s11
	s_cbranch_execnz .LBB3_252
; %bb.253:
	s_or_b32 exec_lo, exec_lo, s11
.LBB3_254:
	s_or_b32 exec_lo, exec_lo, s10
.LBB3_255:
	s_or_b32 exec_lo, exec_lo, s5
	v_mov_b32_e32 v9, 0
	v_readfirstlane_b32 s11, v11
	v_readfirstlane_b32 s10, v10
	s_mov_b32 s5, exec_lo
	s_clause 0x1
	global_load_dwordx2 v[12:13], v9, s[6:7] offset:40
	global_load_dwordx4 v[0:3], v9, s[6:7]
	s_waitcnt vmcnt(1)
	v_readfirstlane_b32 s12, v12
	v_readfirstlane_b32 s13, v13
	s_and_b64 s[12:13], s[12:13], s[10:11]
	s_mul_i32 s14, s13, 24
	s_mul_hi_u32 s15, s12, 24
	s_mul_i32 s16, s12, 24
	s_add_i32 s15, s15, s14
	s_waitcnt vmcnt(0)
	v_add_co_u32 v10, vcc_lo, v0, s16
	v_add_co_ci_u32_e64 v11, null, s15, v1, vcc_lo
	s_and_saveexec_b32 s14, s4
	s_cbranch_execz .LBB3_257
; %bb.256:
	v_mov_b32_e32 v8, s5
	v_mov_b32_e32 v13, v9
	;; [unrolled: 1-line block ×5, first 2 shown]
	global_store_dwordx4 v[10:11], v[12:15], off offset:8
.LBB3_257:
	s_or_b32 exec_lo, exec_lo, s14
	s_lshl_b64 s[12:13], s[12:13], 12
	v_and_or_b32 v6, 0xffffff1f, v6, 32
	v_add_co_u32 v2, vcc_lo, v2, s12
	v_add_co_ci_u32_e64 v3, null, s13, v3, vcc_lo
	s_mov_b32 s12, 0
	v_add_co_u32 v12, vcc_lo, v2, v33
	s_mov_b32 s15, s12
	s_mov_b32 s13, s12
	;; [unrolled: 1-line block ×3, first 2 shown]
	v_mov_b32_e32 v8, 0x331
	v_readfirstlane_b32 s16, v2
	v_readfirstlane_b32 s17, v3
	v_mov_b32_e32 v17, s15
	v_add_co_ci_u32_e64 v13, null, 0, v3, vcc_lo
	v_mov_b32_e32 v16, s14
	v_mov_b32_e32 v15, s13
	;; [unrolled: 1-line block ×3, first 2 shown]
	global_store_dwordx4 v33, v[6:9], s[16:17]
	global_store_dwordx4 v33, v[14:17], s[16:17] offset:16
	global_store_dwordx4 v33, v[14:17], s[16:17] offset:32
	global_store_dwordx4 v33, v[14:17], s[16:17] offset:48
	s_and_saveexec_b32 s5, s4
	s_cbranch_execz .LBB3_265
; %bb.258:
	v_mov_b32_e32 v8, 0
	v_mov_b32_e32 v14, s10
	;; [unrolled: 1-line block ×3, first 2 shown]
	s_clause 0x1
	global_load_dwordx2 v[16:17], v8, s[6:7] offset:32 glc dlc
	global_load_dwordx2 v[2:3], v8, s[6:7] offset:40
	s_waitcnt vmcnt(0)
	v_readfirstlane_b32 s12, v2
	v_readfirstlane_b32 s13, v3
	s_and_b64 s[12:13], s[12:13], s[10:11]
	s_mul_i32 s13, s13, 24
	s_mul_hi_u32 s14, s12, 24
	s_mul_i32 s12, s12, 24
	s_add_i32 s14, s14, s13
	v_add_co_u32 v6, vcc_lo, v0, s12
	v_add_co_ci_u32_e64 v7, null, s14, v1, vcc_lo
	s_mov_b32 s12, exec_lo
	global_store_dwordx2 v[6:7], v[16:17], off
	s_waitcnt_vscnt null, 0x0
	global_atomic_cmpswap_x2 v[2:3], v8, v[14:17], s[6:7] offset:32 glc
	s_waitcnt vmcnt(0)
	v_cmpx_ne_u64_e64 v[2:3], v[16:17]
	s_cbranch_execz .LBB3_261
; %bb.259:
	s_mov_b32 s13, 0
.LBB3_260:                              ; =>This Inner Loop Header: Depth=1
	v_mov_b32_e32 v0, s10
	v_mov_b32_e32 v1, s11
	s_sleep 1
	global_store_dwordx2 v[6:7], v[2:3], off
	s_waitcnt_vscnt null, 0x0
	global_atomic_cmpswap_x2 v[0:1], v8, v[0:3], s[6:7] offset:32 glc
	s_waitcnt vmcnt(0)
	v_cmp_eq_u64_e32 vcc_lo, v[0:1], v[2:3]
	v_mov_b32_e32 v3, v1
	v_mov_b32_e32 v2, v0
	s_or_b32 s13, vcc_lo, s13
	s_andn2_b32 exec_lo, exec_lo, s13
	s_cbranch_execnz .LBB3_260
.LBB3_261:
	s_or_b32 exec_lo, exec_lo, s12
	v_mov_b32_e32 v3, 0
	s_mov_b32 s13, exec_lo
	s_mov_b32 s12, exec_lo
	v_mbcnt_lo_u32_b32 v2, s13, 0
	global_load_dwordx2 v[0:1], v3, s[6:7] offset:16
	v_cmpx_eq_u32_e32 0, v2
	s_cbranch_execz .LBB3_263
; %bb.262:
	s_bcnt1_i32_b32 s13, s13
	v_mov_b32_e32 v2, s13
	s_waitcnt vmcnt(0)
	global_atomic_add_x2 v[0:1], v[2:3], off offset:8
.LBB3_263:
	s_or_b32 exec_lo, exec_lo, s12
	s_waitcnt vmcnt(0)
	global_load_dwordx2 v[2:3], v[0:1], off offset:16
	s_waitcnt vmcnt(0)
	v_cmp_eq_u64_e32 vcc_lo, 0, v[2:3]
	s_cbranch_vccnz .LBB3_265
; %bb.264:
	global_load_dword v0, v[0:1], off offset:24
	v_mov_b32_e32 v1, 0
	s_waitcnt vmcnt(0)
	v_readfirstlane_b32 s12, v0
	s_waitcnt_vscnt null, 0x0
	global_store_dwordx2 v[2:3], v[0:1], off
	s_and_b32 m0, s12, 0x7fffff
	s_sendmsg sendmsg(MSG_INTERRUPT)
.LBB3_265:
	s_or_b32 exec_lo, exec_lo, s5
	s_branch .LBB3_269
	.p2align	6
.LBB3_266:                              ;   in Loop: Header=BB3_269 Depth=1
	s_or_b32 exec_lo, exec_lo, s5
	v_readfirstlane_b32 s5, v0
	s_cmp_eq_u32 s5, 0
	s_cbranch_scc1 .LBB3_268
; %bb.267:                              ;   in Loop: Header=BB3_269 Depth=1
	s_sleep 1
	s_cbranch_execnz .LBB3_269
	s_branch .LBB3_271
	.p2align	6
.LBB3_268:
	s_branch .LBB3_271
.LBB3_269:                              ; =>This Inner Loop Header: Depth=1
	v_mov_b32_e32 v0, 1
	s_and_saveexec_b32 s5, s4
	s_cbranch_execz .LBB3_266
; %bb.270:                              ;   in Loop: Header=BB3_269 Depth=1
	global_load_dword v0, v[10:11], off offset:20 glc dlc
	s_waitcnt vmcnt(0)
	buffer_gl1_inv
	buffer_gl0_inv
	v_and_b32_e32 v0, 1, v0
	s_branch .LBB3_266
.LBB3_271:
	global_load_dwordx2 v[0:1], v[12:13], off
	s_and_saveexec_b32 s12, s4
	s_cbranch_execz .LBB3_275
; %bb.272:
	v_mov_b32_e32 v10, 0
	s_clause 0x2
	global_load_dwordx2 v[2:3], v10, s[6:7] offset:40
	global_load_dwordx2 v[13:14], v10, s[6:7] offset:24 glc dlc
	global_load_dwordx2 v[6:7], v10, s[6:7]
	s_waitcnt vmcnt(2)
	v_readfirstlane_b32 s14, v2
	v_readfirstlane_b32 s15, v3
	s_add_u32 s13, s14, 1
	s_addc_u32 s16, s15, 0
	s_add_u32 s4, s13, s10
	s_addc_u32 s5, s16, s11
	s_cmp_eq_u64 s[4:5], 0
	s_cselect_b32 s5, s16, s5
	s_cselect_b32 s4, s13, s4
	v_mov_b32_e32 v12, s5
	s_and_b64 s[10:11], s[4:5], s[14:15]
	v_mov_b32_e32 v11, s4
	s_mul_i32 s11, s11, 24
	s_mul_hi_u32 s13, s10, 24
	s_mul_i32 s10, s10, 24
	s_add_i32 s13, s13, s11
	s_waitcnt vmcnt(0)
	v_add_co_u32 v2, vcc_lo, v6, s10
	v_add_co_ci_u32_e64 v3, null, s13, v7, vcc_lo
	global_store_dwordx2 v[2:3], v[13:14], off
	s_waitcnt_vscnt null, 0x0
	global_atomic_cmpswap_x2 v[8:9], v10, v[11:14], s[6:7] offset:24 glc
	s_waitcnt vmcnt(0)
	v_cmp_ne_u64_e32 vcc_lo, v[8:9], v[13:14]
	s_and_b32 exec_lo, exec_lo, vcc_lo
	s_cbranch_execz .LBB3_275
; %bb.273:
	s_mov_b32 s10, 0
.LBB3_274:                              ; =>This Inner Loop Header: Depth=1
	v_mov_b32_e32 v6, s4
	v_mov_b32_e32 v7, s5
	s_sleep 1
	global_store_dwordx2 v[2:3], v[8:9], off
	s_waitcnt_vscnt null, 0x0
	global_atomic_cmpswap_x2 v[6:7], v10, v[6:9], s[6:7] offset:24 glc
	s_waitcnt vmcnt(0)
	v_cmp_eq_u64_e32 vcc_lo, v[6:7], v[8:9]
	v_mov_b32_e32 v9, v7
	v_mov_b32_e32 v8, v6
	s_or_b32 s10, vcc_lo, s10
	s_andn2_b32 exec_lo, exec_lo, s10
	s_cbranch_execnz .LBB3_274
.LBB3_275:
	s_or_b32 exec_lo, exec_lo, s12
	v_mov_b32_e32 v7, v5
	v_mov_b32_e32 v6, v4
	s_mov_b32 s4, 0
.LBB3_276:                              ; =>This Inner Loop Header: Depth=1
	global_load_ubyte v8, v[6:7], off
	v_add_co_u32 v2, vcc_lo, v6, 1
	v_add_co_ci_u32_e64 v3, null, 0, v7, vcc_lo
	v_mov_b32_e32 v7, v3
	v_mov_b32_e32 v6, v2
	s_waitcnt vmcnt(0)
	v_cmp_eq_u16_e32 vcc_lo, 0, v8
	s_or_b32 s4, vcc_lo, s4
	s_andn2_b32 exec_lo, exec_lo, s4
	s_cbranch_execnz .LBB3_276
; %bb.277:
	s_or_b32 exec_lo, exec_lo, s4
	s_mov_b32 s4, exec_lo
	v_cmpx_ne_u64_e32 0, v[4:5]
	s_xor_b32 s14, exec_lo, s4
	s_cbranch_execz .LBB3_363
; %bb.278:
	v_sub_nc_u32_e32 v26, v2, v4
	v_and_b32_e32 v34, 2, v0
	v_mov_b32_e32 v7, 0
	v_and_b32_e32 v0, -3, v0
	v_mov_b32_e32 v8, 2
	v_ashrrev_i32_e32 v27, 31, v26
	v_mov_b32_e32 v9, 1
	s_mov_b32 s16, 0
	s_mov_b32 s15, 0
	s_branch .LBB3_280
.LBB3_279:                              ;   in Loop: Header=BB3_280 Depth=1
	s_or_b32 exec_lo, exec_lo, s12
	v_sub_co_u32 v26, vcc_lo, v26, v28
	v_sub_co_ci_u32_e64 v27, null, v27, v29, vcc_lo
	v_add_co_u32 v4, s4, v4, v28
	v_add_co_ci_u32_e64 v5, null, v5, v29, s4
	v_cmp_eq_u64_e32 vcc_lo, 0, v[26:27]
	s_or_b32 s15, vcc_lo, s15
	s_andn2_b32 exec_lo, exec_lo, s15
	s_cbranch_execz .LBB3_362
.LBB3_280:                              ; =>This Loop Header: Depth=1
                                        ;     Child Loop BB3_283 Depth 2
                                        ;     Child Loop BB3_291 Depth 2
	;; [unrolled: 1-line block ×11, first 2 shown]
	v_cmp_gt_u64_e32 vcc_lo, 56, v[26:27]
	s_mov_b32 s5, exec_lo
	v_cndmask_b32_e32 v29, 0, v27, vcc_lo
	v_cndmask_b32_e32 v28, 56, v26, vcc_lo
	v_add_co_u32 v12, vcc_lo, v4, 8
	v_add_co_ci_u32_e64 v13, null, 0, v5, vcc_lo
	v_cmpx_gt_u64_e32 8, v[26:27]
	s_xor_b32 s5, exec_lo, s5
	s_cbranch_execz .LBB3_286
; %bb.281:                              ;   in Loop: Header=BB3_280 Depth=1
	v_mov_b32_e32 v2, 0
	v_mov_b32_e32 v3, 0
	s_mov_b32 s12, exec_lo
	v_cmpx_ne_u64_e32 0, v[26:27]
	s_cbranch_execz .LBB3_285
; %bb.282:                              ;   in Loop: Header=BB3_280 Depth=1
	v_lshlrev_b64 v[10:11], 3, v[28:29]
	v_mov_b32_e32 v2, 0
	v_mov_b32_e32 v12, v5
	;; [unrolled: 1-line block ×4, first 2 shown]
	s_mov_b64 s[10:11], 0
	s_mov_b32 s13, 0
	.p2align	6
.LBB3_283:                              ;   Parent Loop BB3_280 Depth=1
                                        ; =>  This Inner Loop Header: Depth=2
	global_load_ubyte v6, v[11:12], off
	v_mov_b32_e32 v14, s16
	v_add_co_u32 v11, vcc_lo, v11, 1
	v_add_co_ci_u32_e64 v12, null, 0, v12, vcc_lo
	s_waitcnt vmcnt(0)
	v_and_b32_e32 v13, 0xffff, v6
	v_lshlrev_b64 v[13:14], s10, v[13:14]
	s_add_u32 s10, s10, 8
	s_addc_u32 s11, s11, 0
	v_cmp_eq_u32_e64 s4, s10, v10
	v_or_b32_e32 v3, v14, v3
	v_or_b32_e32 v2, v13, v2
	s_or_b32 s13, s4, s13
	s_andn2_b32 exec_lo, exec_lo, s13
	s_cbranch_execnz .LBB3_283
; %bb.284:                              ;   in Loop: Header=BB3_280 Depth=1
	s_or_b32 exec_lo, exec_lo, s13
.LBB3_285:                              ;   in Loop: Header=BB3_280 Depth=1
	s_or_b32 exec_lo, exec_lo, s12
	v_mov_b32_e32 v13, v5
	v_mov_b32_e32 v12, v4
.LBB3_286:                              ;   in Loop: Header=BB3_280 Depth=1
	s_or_saveexec_b32 s4, s5
	v_mov_b32_e32 v6, 0
	s_xor_b32 exec_lo, exec_lo, s4
	s_cbranch_execz .LBB3_288
; %bb.287:                              ;   in Loop: Header=BB3_280 Depth=1
	global_load_dwordx2 v[2:3], v[4:5], off
	v_add_nc_u32_e32 v6, -8, v28
.LBB3_288:                              ;   in Loop: Header=BB3_280 Depth=1
	s_or_b32 exec_lo, exec_lo, s4
	v_add_co_u32 v14, s4, v12, 8
	v_add_co_ci_u32_e64 v15, null, 0, v13, s4
                                        ; implicit-def: $vgpr10_vgpr11
	s_mov_b32 s4, exec_lo
	v_cmpx_gt_u32_e32 8, v6
	s_xor_b32 s12, exec_lo, s4
	s_cbranch_execz .LBB3_294
; %bb.289:                              ;   in Loop: Header=BB3_280 Depth=1
	v_mov_b32_e32 v10, 0
	v_mov_b32_e32 v11, 0
	s_mov_b32 s13, exec_lo
	v_cmpx_ne_u32_e32 0, v6
	s_cbranch_execz .LBB3_293
; %bb.290:                              ;   in Loop: Header=BB3_280 Depth=1
	v_mov_b32_e32 v10, 0
	v_mov_b32_e32 v11, 0
	s_mov_b64 s[4:5], 0
	s_mov_b32 s17, 0
	s_mov_b64 s[10:11], 0
	.p2align	6
.LBB3_291:                              ;   Parent Loop BB3_280 Depth=1
                                        ; =>  This Inner Loop Header: Depth=2
	v_add_co_u32 v14, vcc_lo, v12, s10
	v_add_co_ci_u32_e64 v15, null, s11, v13, vcc_lo
	s_add_u32 s10, s10, 1
	s_addc_u32 s11, s11, 0
	v_cmp_eq_u32_e32 vcc_lo, s10, v6
	global_load_ubyte v14, v[14:15], off
	v_mov_b32_e32 v15, s16
	s_waitcnt vmcnt(0)
	v_and_b32_e32 v14, 0xffff, v14
	v_lshlrev_b64 v[14:15], s4, v[14:15]
	s_add_u32 s4, s4, 8
	s_addc_u32 s5, s5, 0
	s_or_b32 s17, vcc_lo, s17
	v_or_b32_e32 v11, v15, v11
	v_or_b32_e32 v10, v14, v10
	s_andn2_b32 exec_lo, exec_lo, s17
	s_cbranch_execnz .LBB3_291
; %bb.292:                              ;   in Loop: Header=BB3_280 Depth=1
	s_or_b32 exec_lo, exec_lo, s17
.LBB3_293:                              ;   in Loop: Header=BB3_280 Depth=1
	s_or_b32 exec_lo, exec_lo, s13
	v_mov_b32_e32 v15, v13
	v_mov_b32_e32 v14, v12
                                        ; implicit-def: $vgpr6
.LBB3_294:                              ;   in Loop: Header=BB3_280 Depth=1
	s_or_saveexec_b32 s4, s12
	v_mov_b32_e32 v18, 0
	s_xor_b32 exec_lo, exec_lo, s4
	s_cbranch_execz .LBB3_296
; %bb.295:                              ;   in Loop: Header=BB3_280 Depth=1
	global_load_dwordx2 v[10:11], v[12:13], off
	v_add_nc_u32_e32 v18, -8, v6
.LBB3_296:                              ;   in Loop: Header=BB3_280 Depth=1
	s_or_b32 exec_lo, exec_lo, s4
	v_add_co_u32 v16, s4, v14, 8
	v_add_co_ci_u32_e64 v17, null, 0, v15, s4
	s_mov_b32 s4, exec_lo
	v_cmpx_gt_u32_e32 8, v18
	s_xor_b32 s12, exec_lo, s4
	s_cbranch_execz .LBB3_302
; %bb.297:                              ;   in Loop: Header=BB3_280 Depth=1
	v_mov_b32_e32 v12, 0
	v_mov_b32_e32 v13, 0
	s_mov_b32 s13, exec_lo
	v_cmpx_ne_u32_e32 0, v18
	s_cbranch_execz .LBB3_301
; %bb.298:                              ;   in Loop: Header=BB3_280 Depth=1
	v_mov_b32_e32 v12, 0
	v_mov_b32_e32 v13, 0
	s_mov_b64 s[4:5], 0
	s_mov_b32 s17, 0
	s_mov_b64 s[10:11], 0
	.p2align	6
.LBB3_299:                              ;   Parent Loop BB3_280 Depth=1
                                        ; =>  This Inner Loop Header: Depth=2
	v_add_co_u32 v16, vcc_lo, v14, s10
	v_add_co_ci_u32_e64 v17, null, s11, v15, vcc_lo
	s_add_u32 s10, s10, 1
	s_addc_u32 s11, s11, 0
	v_cmp_eq_u32_e32 vcc_lo, s10, v18
	global_load_ubyte v6, v[16:17], off
	v_mov_b32_e32 v17, s16
	s_waitcnt vmcnt(0)
	v_and_b32_e32 v16, 0xffff, v6
	v_lshlrev_b64 v[16:17], s4, v[16:17]
	s_add_u32 s4, s4, 8
	s_addc_u32 s5, s5, 0
	s_or_b32 s17, vcc_lo, s17
	v_or_b32_e32 v13, v17, v13
	v_or_b32_e32 v12, v16, v12
	s_andn2_b32 exec_lo, exec_lo, s17
	s_cbranch_execnz .LBB3_299
; %bb.300:                              ;   in Loop: Header=BB3_280 Depth=1
	s_or_b32 exec_lo, exec_lo, s17
.LBB3_301:                              ;   in Loop: Header=BB3_280 Depth=1
	s_or_b32 exec_lo, exec_lo, s13
	v_mov_b32_e32 v17, v15
	v_mov_b32_e32 v16, v14
                                        ; implicit-def: $vgpr18
.LBB3_302:                              ;   in Loop: Header=BB3_280 Depth=1
	s_or_saveexec_b32 s4, s12
	v_mov_b32_e32 v6, 0
	s_xor_b32 exec_lo, exec_lo, s4
	s_cbranch_execz .LBB3_304
; %bb.303:                              ;   in Loop: Header=BB3_280 Depth=1
	global_load_dwordx2 v[12:13], v[14:15], off
	v_add_nc_u32_e32 v6, -8, v18
.LBB3_304:                              ;   in Loop: Header=BB3_280 Depth=1
	s_or_b32 exec_lo, exec_lo, s4
	v_add_co_u32 v18, s4, v16, 8
	v_add_co_ci_u32_e64 v19, null, 0, v17, s4
                                        ; implicit-def: $vgpr14_vgpr15
	s_mov_b32 s4, exec_lo
	v_cmpx_gt_u32_e32 8, v6
	s_xor_b32 s12, exec_lo, s4
	s_cbranch_execz .LBB3_310
; %bb.305:                              ;   in Loop: Header=BB3_280 Depth=1
	v_mov_b32_e32 v14, 0
	v_mov_b32_e32 v15, 0
	s_mov_b32 s13, exec_lo
	v_cmpx_ne_u32_e32 0, v6
	s_cbranch_execz .LBB3_309
; %bb.306:                              ;   in Loop: Header=BB3_280 Depth=1
	v_mov_b32_e32 v14, 0
	v_mov_b32_e32 v15, 0
	s_mov_b64 s[4:5], 0
	s_mov_b32 s17, 0
	s_mov_b64 s[10:11], 0
	.p2align	6
.LBB3_307:                              ;   Parent Loop BB3_280 Depth=1
                                        ; =>  This Inner Loop Header: Depth=2
	v_add_co_u32 v18, vcc_lo, v16, s10
	v_add_co_ci_u32_e64 v19, null, s11, v17, vcc_lo
	s_add_u32 s10, s10, 1
	s_addc_u32 s11, s11, 0
	v_cmp_eq_u32_e32 vcc_lo, s10, v6
	global_load_ubyte v18, v[18:19], off
	v_mov_b32_e32 v19, s16
	s_waitcnt vmcnt(0)
	v_and_b32_e32 v18, 0xffff, v18
	v_lshlrev_b64 v[18:19], s4, v[18:19]
	s_add_u32 s4, s4, 8
	s_addc_u32 s5, s5, 0
	s_or_b32 s17, vcc_lo, s17
	v_or_b32_e32 v15, v19, v15
	v_or_b32_e32 v14, v18, v14
	s_andn2_b32 exec_lo, exec_lo, s17
	s_cbranch_execnz .LBB3_307
; %bb.308:                              ;   in Loop: Header=BB3_280 Depth=1
	s_or_b32 exec_lo, exec_lo, s17
.LBB3_309:                              ;   in Loop: Header=BB3_280 Depth=1
	s_or_b32 exec_lo, exec_lo, s13
	v_mov_b32_e32 v19, v17
	v_mov_b32_e32 v18, v16
                                        ; implicit-def: $vgpr6
.LBB3_310:                              ;   in Loop: Header=BB3_280 Depth=1
	s_or_saveexec_b32 s4, s12
	v_mov_b32_e32 v22, 0
	s_xor_b32 exec_lo, exec_lo, s4
	s_cbranch_execz .LBB3_312
; %bb.311:                              ;   in Loop: Header=BB3_280 Depth=1
	global_load_dwordx2 v[14:15], v[16:17], off
	v_add_nc_u32_e32 v22, -8, v6
.LBB3_312:                              ;   in Loop: Header=BB3_280 Depth=1
	s_or_b32 exec_lo, exec_lo, s4
	v_add_co_u32 v20, s4, v18, 8
	v_add_co_ci_u32_e64 v21, null, 0, v19, s4
	s_mov_b32 s4, exec_lo
	v_cmpx_gt_u32_e32 8, v22
	s_xor_b32 s12, exec_lo, s4
	s_cbranch_execz .LBB3_318
; %bb.313:                              ;   in Loop: Header=BB3_280 Depth=1
	v_mov_b32_e32 v16, 0
	v_mov_b32_e32 v17, 0
	s_mov_b32 s13, exec_lo
	v_cmpx_ne_u32_e32 0, v22
	s_cbranch_execz .LBB3_317
; %bb.314:                              ;   in Loop: Header=BB3_280 Depth=1
	v_mov_b32_e32 v16, 0
	v_mov_b32_e32 v17, 0
	s_mov_b64 s[4:5], 0
	s_mov_b32 s17, 0
	s_mov_b64 s[10:11], 0
	.p2align	6
.LBB3_315:                              ;   Parent Loop BB3_280 Depth=1
                                        ; =>  This Inner Loop Header: Depth=2
	v_add_co_u32 v20, vcc_lo, v18, s10
	v_add_co_ci_u32_e64 v21, null, s11, v19, vcc_lo
	s_add_u32 s10, s10, 1
	s_addc_u32 s11, s11, 0
	v_cmp_eq_u32_e32 vcc_lo, s10, v22
	global_load_ubyte v6, v[20:21], off
	v_mov_b32_e32 v21, s16
	s_waitcnt vmcnt(0)
	v_and_b32_e32 v20, 0xffff, v6
	v_lshlrev_b64 v[20:21], s4, v[20:21]
	s_add_u32 s4, s4, 8
	s_addc_u32 s5, s5, 0
	s_or_b32 s17, vcc_lo, s17
	v_or_b32_e32 v17, v21, v17
	v_or_b32_e32 v16, v20, v16
	s_andn2_b32 exec_lo, exec_lo, s17
	s_cbranch_execnz .LBB3_315
; %bb.316:                              ;   in Loop: Header=BB3_280 Depth=1
	s_or_b32 exec_lo, exec_lo, s17
.LBB3_317:                              ;   in Loop: Header=BB3_280 Depth=1
	s_or_b32 exec_lo, exec_lo, s13
	v_mov_b32_e32 v21, v19
	v_mov_b32_e32 v20, v18
                                        ; implicit-def: $vgpr22
.LBB3_318:                              ;   in Loop: Header=BB3_280 Depth=1
	s_or_saveexec_b32 s4, s12
	v_mov_b32_e32 v6, 0
	s_xor_b32 exec_lo, exec_lo, s4
	s_cbranch_execz .LBB3_320
; %bb.319:                              ;   in Loop: Header=BB3_280 Depth=1
	global_load_dwordx2 v[16:17], v[18:19], off
	v_add_nc_u32_e32 v6, -8, v22
.LBB3_320:                              ;   in Loop: Header=BB3_280 Depth=1
	s_or_b32 exec_lo, exec_lo, s4
	v_add_co_u32 v22, s4, v20, 8
	v_add_co_ci_u32_e64 v23, null, 0, v21, s4
                                        ; implicit-def: $vgpr18_vgpr19
	s_mov_b32 s4, exec_lo
	v_cmpx_gt_u32_e32 8, v6
	s_xor_b32 s12, exec_lo, s4
	s_cbranch_execz .LBB3_326
; %bb.321:                              ;   in Loop: Header=BB3_280 Depth=1
	v_mov_b32_e32 v18, 0
	v_mov_b32_e32 v19, 0
	s_mov_b32 s13, exec_lo
	v_cmpx_ne_u32_e32 0, v6
	s_cbranch_execz .LBB3_325
; %bb.322:                              ;   in Loop: Header=BB3_280 Depth=1
	v_mov_b32_e32 v18, 0
	v_mov_b32_e32 v19, 0
	s_mov_b64 s[4:5], 0
	s_mov_b32 s17, 0
	s_mov_b64 s[10:11], 0
	.p2align	6
.LBB3_323:                              ;   Parent Loop BB3_280 Depth=1
                                        ; =>  This Inner Loop Header: Depth=2
	v_add_co_u32 v22, vcc_lo, v20, s10
	v_add_co_ci_u32_e64 v23, null, s11, v21, vcc_lo
	s_add_u32 s10, s10, 1
	s_addc_u32 s11, s11, 0
	v_cmp_eq_u32_e32 vcc_lo, s10, v6
	global_load_ubyte v22, v[22:23], off
	v_mov_b32_e32 v23, s16
	s_waitcnt vmcnt(0)
	v_and_b32_e32 v22, 0xffff, v22
	v_lshlrev_b64 v[22:23], s4, v[22:23]
	s_add_u32 s4, s4, 8
	s_addc_u32 s5, s5, 0
	s_or_b32 s17, vcc_lo, s17
	v_or_b32_e32 v19, v23, v19
	v_or_b32_e32 v18, v22, v18
	s_andn2_b32 exec_lo, exec_lo, s17
	s_cbranch_execnz .LBB3_323
; %bb.324:                              ;   in Loop: Header=BB3_280 Depth=1
	s_or_b32 exec_lo, exec_lo, s17
.LBB3_325:                              ;   in Loop: Header=BB3_280 Depth=1
	s_or_b32 exec_lo, exec_lo, s13
	v_mov_b32_e32 v23, v21
	v_mov_b32_e32 v22, v20
                                        ; implicit-def: $vgpr6
.LBB3_326:                              ;   in Loop: Header=BB3_280 Depth=1
	s_or_saveexec_b32 s4, s12
	v_mov_b32_e32 v24, 0
	s_xor_b32 exec_lo, exec_lo, s4
	s_cbranch_execz .LBB3_328
; %bb.327:                              ;   in Loop: Header=BB3_280 Depth=1
	global_load_dwordx2 v[18:19], v[20:21], off
	v_add_nc_u32_e32 v24, -8, v6
.LBB3_328:                              ;   in Loop: Header=BB3_280 Depth=1
	s_or_b32 exec_lo, exec_lo, s4
	s_mov_b32 s4, exec_lo
	v_cmpx_gt_u32_e32 8, v24
	s_xor_b32 s10, exec_lo, s4
	s_cbranch_execz .LBB3_334
; %bb.329:                              ;   in Loop: Header=BB3_280 Depth=1
	v_mov_b32_e32 v20, 0
	v_mov_b32_e32 v21, 0
	s_mov_b32 s11, exec_lo
	v_cmpx_ne_u32_e32 0, v24
	s_cbranch_execz .LBB3_333
; %bb.330:                              ;   in Loop: Header=BB3_280 Depth=1
	v_mov_b32_e32 v20, 0
	v_mov_b32_e32 v21, 0
	s_mov_b64 s[4:5], 0
	s_mov_b32 s12, 0
	.p2align	6
.LBB3_331:                              ;   Parent Loop BB3_280 Depth=1
                                        ; =>  This Inner Loop Header: Depth=2
	global_load_ubyte v6, v[22:23], off
	v_mov_b32_e32 v31, s16
	v_add_nc_u32_e32 v24, -1, v24
	v_add_co_u32 v22, vcc_lo, v22, 1
	v_add_co_ci_u32_e64 v23, null, 0, v23, vcc_lo
	v_cmp_eq_u32_e32 vcc_lo, 0, v24
	s_waitcnt vmcnt(0)
	v_and_b32_e32 v30, 0xffff, v6
	v_lshlrev_b64 v[30:31], s4, v[30:31]
	s_add_u32 s4, s4, 8
	s_addc_u32 s5, s5, 0
	s_or_b32 s12, vcc_lo, s12
	v_or_b32_e32 v21, v31, v21
	v_or_b32_e32 v20, v30, v20
	s_andn2_b32 exec_lo, exec_lo, s12
	s_cbranch_execnz .LBB3_331
; %bb.332:                              ;   in Loop: Header=BB3_280 Depth=1
	s_or_b32 exec_lo, exec_lo, s12
.LBB3_333:                              ;   in Loop: Header=BB3_280 Depth=1
	s_or_b32 exec_lo, exec_lo, s11
                                        ; implicit-def: $vgpr22_vgpr23
.LBB3_334:                              ;   in Loop: Header=BB3_280 Depth=1
	s_andn2_saveexec_b32 s4, s10
	s_cbranch_execz .LBB3_336
; %bb.335:                              ;   in Loop: Header=BB3_280 Depth=1
	global_load_dwordx2 v[20:21], v[22:23], off
.LBB3_336:                              ;   in Loop: Header=BB3_280 Depth=1
	s_or_b32 exec_lo, exec_lo, s4
	v_readfirstlane_b32 s4, v32
	v_mov_b32_e32 v30, 0
	v_mov_b32_e32 v31, 0
	v_cmp_eq_u32_e64 s4, s4, v32
	s_and_saveexec_b32 s5, s4
	s_cbranch_execz .LBB3_342
; %bb.337:                              ;   in Loop: Header=BB3_280 Depth=1
	global_load_dwordx2 v[24:25], v7, s[6:7] offset:24 glc dlc
	s_waitcnt vmcnt(0)
	buffer_gl1_inv
	buffer_gl0_inv
	s_clause 0x1
	global_load_dwordx2 v[22:23], v7, s[6:7] offset:40
	global_load_dwordx2 v[30:31], v7, s[6:7]
	s_mov_b32 s10, exec_lo
	s_waitcnt vmcnt(1)
	v_and_b32_e32 v6, v23, v25
	v_and_b32_e32 v22, v22, v24
	v_mul_lo_u32 v6, v6, 24
	v_mul_hi_u32 v23, v22, 24
	v_mul_lo_u32 v22, v22, 24
	v_add_nc_u32_e32 v6, v23, v6
	s_waitcnt vmcnt(0)
	v_add_co_u32 v22, vcc_lo, v30, v22
	v_add_co_ci_u32_e64 v23, null, v31, v6, vcc_lo
	global_load_dwordx2 v[22:23], v[22:23], off glc dlc
	s_waitcnt vmcnt(0)
	global_atomic_cmpswap_x2 v[30:31], v7, v[22:25], s[6:7] offset:24 glc
	s_waitcnt vmcnt(0)
	buffer_gl1_inv
	buffer_gl0_inv
	v_cmpx_ne_u64_e64 v[30:31], v[24:25]
	s_cbranch_execz .LBB3_341
; %bb.338:                              ;   in Loop: Header=BB3_280 Depth=1
	s_mov_b32 s11, 0
	.p2align	6
.LBB3_339:                              ;   Parent Loop BB3_280 Depth=1
                                        ; =>  This Inner Loop Header: Depth=2
	s_sleep 1
	s_clause 0x1
	global_load_dwordx2 v[22:23], v7, s[6:7] offset:40
	global_load_dwordx2 v[35:36], v7, s[6:7]
	v_mov_b32_e32 v24, v30
	v_mov_b32_e32 v25, v31
	s_waitcnt vmcnt(1)
	v_and_b32_e32 v6, v22, v24
	v_and_b32_e32 v22, v23, v25
	s_waitcnt vmcnt(0)
	v_mad_u64_u32 v[30:31], null, v6, 24, v[35:36]
	v_mov_b32_e32 v6, v31
	v_mad_u64_u32 v[22:23], null, v22, 24, v[6:7]
	v_mov_b32_e32 v31, v22
	global_load_dwordx2 v[22:23], v[30:31], off glc dlc
	s_waitcnt vmcnt(0)
	global_atomic_cmpswap_x2 v[30:31], v7, v[22:25], s[6:7] offset:24 glc
	s_waitcnt vmcnt(0)
	buffer_gl1_inv
	buffer_gl0_inv
	v_cmp_eq_u64_e32 vcc_lo, v[30:31], v[24:25]
	s_or_b32 s11, vcc_lo, s11
	s_andn2_b32 exec_lo, exec_lo, s11
	s_cbranch_execnz .LBB3_339
; %bb.340:                              ;   in Loop: Header=BB3_280 Depth=1
	s_or_b32 exec_lo, exec_lo, s11
.LBB3_341:                              ;   in Loop: Header=BB3_280 Depth=1
	s_or_b32 exec_lo, exec_lo, s10
.LBB3_342:                              ;   in Loop: Header=BB3_280 Depth=1
	s_or_b32 exec_lo, exec_lo, s5
	s_clause 0x1
	global_load_dwordx2 v[35:36], v7, s[6:7] offset:40
	global_load_dwordx4 v[22:25], v7, s[6:7]
	v_readfirstlane_b32 s11, v31
	v_readfirstlane_b32 s10, v30
	s_mov_b32 s5, exec_lo
	s_waitcnt vmcnt(1)
	v_readfirstlane_b32 s12, v35
	v_readfirstlane_b32 s13, v36
	s_and_b64 s[12:13], s[12:13], s[10:11]
	s_mul_i32 s17, s13, 24
	s_mul_hi_u32 s18, s12, 24
	s_mul_i32 s19, s12, 24
	s_add_i32 s18, s18, s17
	s_waitcnt vmcnt(0)
	v_add_co_u32 v30, vcc_lo, v22, s19
	v_add_co_ci_u32_e64 v31, null, s18, v23, vcc_lo
	s_and_saveexec_b32 s17, s4
	s_cbranch_execz .LBB3_344
; %bb.343:                              ;   in Loop: Header=BB3_280 Depth=1
	v_mov_b32_e32 v6, s5
	global_store_dwordx4 v[30:31], v[6:9], off offset:8
.LBB3_344:                              ;   in Loop: Header=BB3_280 Depth=1
	s_or_b32 exec_lo, exec_lo, s17
	v_cmp_gt_u64_e32 vcc_lo, 57, v[26:27]
	s_lshl_b64 s[12:13], s[12:13], 12
	v_and_b32_e32 v0, 0xffffff1f, v0
	v_lshl_add_u32 v35, v28, 2, 28
	v_cndmask_b32_e32 v6, 0, v34, vcc_lo
	v_add_co_u32 v24, vcc_lo, v24, s12
	v_add_co_ci_u32_e64 v25, null, s13, v25, vcc_lo
	v_or_b32_e32 v0, v0, v6
	v_readfirstlane_b32 s12, v24
	v_readfirstlane_b32 s13, v25
	v_and_or_b32 v0, 0x1e0, v35, v0
	global_store_dwordx4 v33, v[10:13], s[12:13] offset:16
	global_store_dwordx4 v33, v[14:17], s[12:13] offset:32
	global_store_dwordx4 v33, v[0:3], s[12:13]
	global_store_dwordx4 v33, v[18:21], s[12:13] offset:48
	s_and_saveexec_b32 s5, s4
	s_cbranch_execz .LBB3_352
; %bb.345:                              ;   in Loop: Header=BB3_280 Depth=1
	s_clause 0x1
	global_load_dwordx2 v[14:15], v7, s[6:7] offset:32 glc dlc
	global_load_dwordx2 v[0:1], v7, s[6:7] offset:40
	v_mov_b32_e32 v12, s10
	v_mov_b32_e32 v13, s11
	s_waitcnt vmcnt(0)
	v_readfirstlane_b32 s12, v0
	v_readfirstlane_b32 s13, v1
	s_and_b64 s[12:13], s[12:13], s[10:11]
	s_mul_i32 s13, s13, 24
	s_mul_hi_u32 s17, s12, 24
	s_mul_i32 s12, s12, 24
	s_add_i32 s17, s17, s13
	v_add_co_u32 v10, vcc_lo, v22, s12
	v_add_co_ci_u32_e64 v11, null, s17, v23, vcc_lo
	s_mov_b32 s12, exec_lo
	global_store_dwordx2 v[10:11], v[14:15], off
	s_waitcnt_vscnt null, 0x0
	global_atomic_cmpswap_x2 v[2:3], v7, v[12:15], s[6:7] offset:32 glc
	s_waitcnt vmcnt(0)
	v_cmpx_ne_u64_e64 v[2:3], v[14:15]
	s_cbranch_execz .LBB3_348
; %bb.346:                              ;   in Loop: Header=BB3_280 Depth=1
	s_mov_b32 s13, 0
.LBB3_347:                              ;   Parent Loop BB3_280 Depth=1
                                        ; =>  This Inner Loop Header: Depth=2
	v_mov_b32_e32 v0, s10
	v_mov_b32_e32 v1, s11
	s_sleep 1
	global_store_dwordx2 v[10:11], v[2:3], off
	s_waitcnt_vscnt null, 0x0
	global_atomic_cmpswap_x2 v[0:1], v7, v[0:3], s[6:7] offset:32 glc
	s_waitcnt vmcnt(0)
	v_cmp_eq_u64_e32 vcc_lo, v[0:1], v[2:3]
	v_mov_b32_e32 v3, v1
	v_mov_b32_e32 v2, v0
	s_or_b32 s13, vcc_lo, s13
	s_andn2_b32 exec_lo, exec_lo, s13
	s_cbranch_execnz .LBB3_347
.LBB3_348:                              ;   in Loop: Header=BB3_280 Depth=1
	s_or_b32 exec_lo, exec_lo, s12
	global_load_dwordx2 v[0:1], v7, s[6:7] offset:16
	s_mov_b32 s13, exec_lo
	s_mov_b32 s12, exec_lo
	v_mbcnt_lo_u32_b32 v2, s13, 0
	v_cmpx_eq_u32_e32 0, v2
	s_cbranch_execz .LBB3_350
; %bb.349:                              ;   in Loop: Header=BB3_280 Depth=1
	s_bcnt1_i32_b32 s13, s13
	v_mov_b32_e32 v6, s13
	s_waitcnt vmcnt(0)
	global_atomic_add_x2 v[0:1], v[6:7], off offset:8
.LBB3_350:                              ;   in Loop: Header=BB3_280 Depth=1
	s_or_b32 exec_lo, exec_lo, s12
	s_waitcnt vmcnt(0)
	global_load_dwordx2 v[2:3], v[0:1], off offset:16
	s_waitcnt vmcnt(0)
	v_cmp_eq_u64_e32 vcc_lo, 0, v[2:3]
	s_cbranch_vccnz .LBB3_352
; %bb.351:                              ;   in Loop: Header=BB3_280 Depth=1
	global_load_dword v6, v[0:1], off offset:24
	s_waitcnt vmcnt(0)
	v_readfirstlane_b32 s12, v6
	s_waitcnt_vscnt null, 0x0
	global_store_dwordx2 v[2:3], v[6:7], off
	s_and_b32 m0, s12, 0x7fffff
	s_sendmsg sendmsg(MSG_INTERRUPT)
.LBB3_352:                              ;   in Loop: Header=BB3_280 Depth=1
	s_or_b32 exec_lo, exec_lo, s5
	v_add_co_u32 v0, vcc_lo, v24, v33
	v_add_co_ci_u32_e64 v1, null, 0, v25, vcc_lo
	s_branch .LBB3_356
	.p2align	6
.LBB3_353:                              ;   in Loop: Header=BB3_356 Depth=2
	s_or_b32 exec_lo, exec_lo, s5
	v_readfirstlane_b32 s5, v2
	s_cmp_eq_u32 s5, 0
	s_cbranch_scc1 .LBB3_355
; %bb.354:                              ;   in Loop: Header=BB3_356 Depth=2
	s_sleep 1
	s_cbranch_execnz .LBB3_356
	s_branch .LBB3_358
	.p2align	6
.LBB3_355:                              ;   in Loop: Header=BB3_280 Depth=1
	s_branch .LBB3_358
.LBB3_356:                              ;   Parent Loop BB3_280 Depth=1
                                        ; =>  This Inner Loop Header: Depth=2
	v_mov_b32_e32 v2, 1
	s_and_saveexec_b32 s5, s4
	s_cbranch_execz .LBB3_353
; %bb.357:                              ;   in Loop: Header=BB3_356 Depth=2
	global_load_dword v2, v[30:31], off offset:20 glc dlc
	s_waitcnt vmcnt(0)
	buffer_gl1_inv
	buffer_gl0_inv
	v_and_b32_e32 v2, 1, v2
	s_branch .LBB3_353
.LBB3_358:                              ;   in Loop: Header=BB3_280 Depth=1
	global_load_dwordx2 v[0:1], v[0:1], off
	s_and_saveexec_b32 s12, s4
	s_cbranch_execz .LBB3_279
; %bb.359:                              ;   in Loop: Header=BB3_280 Depth=1
	s_clause 0x2
	global_load_dwordx2 v[2:3], v7, s[6:7] offset:40
	global_load_dwordx2 v[14:15], v7, s[6:7] offset:24 glc dlc
	global_load_dwordx2 v[10:11], v7, s[6:7]
	s_waitcnt vmcnt(2)
	v_readfirstlane_b32 s18, v2
	v_readfirstlane_b32 s19, v3
	s_add_u32 s13, s18, 1
	s_addc_u32 s17, s19, 0
	s_add_u32 s4, s13, s10
	s_addc_u32 s5, s17, s11
	s_cmp_eq_u64 s[4:5], 0
	s_cselect_b32 s5, s17, s5
	s_cselect_b32 s4, s13, s4
	v_mov_b32_e32 v13, s5
	s_and_b64 s[10:11], s[4:5], s[18:19]
	v_mov_b32_e32 v12, s4
	s_mul_i32 s11, s11, 24
	s_mul_hi_u32 s13, s10, 24
	s_mul_i32 s10, s10, 24
	s_add_i32 s13, s13, s11
	s_waitcnt vmcnt(0)
	v_add_co_u32 v2, vcc_lo, v10, s10
	v_add_co_ci_u32_e64 v3, null, s13, v11, vcc_lo
	global_store_dwordx2 v[2:3], v[14:15], off
	s_waitcnt_vscnt null, 0x0
	global_atomic_cmpswap_x2 v[12:13], v7, v[12:15], s[6:7] offset:24 glc
	s_waitcnt vmcnt(0)
	v_cmp_ne_u64_e32 vcc_lo, v[12:13], v[14:15]
	s_and_b32 exec_lo, exec_lo, vcc_lo
	s_cbranch_execz .LBB3_279
; %bb.360:                              ;   in Loop: Header=BB3_280 Depth=1
	s_mov_b32 s10, 0
.LBB3_361:                              ;   Parent Loop BB3_280 Depth=1
                                        ; =>  This Inner Loop Header: Depth=2
	v_mov_b32_e32 v10, s4
	v_mov_b32_e32 v11, s5
	s_sleep 1
	global_store_dwordx2 v[2:3], v[12:13], off
	s_waitcnt_vscnt null, 0x0
	global_atomic_cmpswap_x2 v[10:11], v7, v[10:13], s[6:7] offset:24 glc
	s_waitcnt vmcnt(0)
	v_cmp_eq_u64_e32 vcc_lo, v[10:11], v[12:13]
	v_mov_b32_e32 v13, v11
	v_mov_b32_e32 v12, v10
	s_or_b32 s10, vcc_lo, s10
	s_andn2_b32 exec_lo, exec_lo, s10
	s_cbranch_execnz .LBB3_361
	s_branch .LBB3_279
.LBB3_362:
	s_or_b32 exec_lo, exec_lo, s15
                                        ; implicit-def: $vgpr33
                                        ; implicit-def: $vgpr32
.LBB3_363:
	s_andn2_saveexec_b32 s14, s14
	s_cbranch_execz .LBB3_391
; %bb.364:
	v_readfirstlane_b32 s4, v32
	v_mov_b32_e32 v8, 0
	v_mov_b32_e32 v9, 0
	v_cmp_eq_u32_e64 s4, s4, v32
	s_and_saveexec_b32 s5, s4
	s_cbranch_execz .LBB3_370
; %bb.365:
	v_mov_b32_e32 v2, 0
	s_mov_b32 s10, exec_lo
	global_load_dwordx2 v[5:6], v2, s[6:7] offset:24 glc dlc
	s_waitcnt vmcnt(0)
	buffer_gl1_inv
	buffer_gl0_inv
	s_clause 0x1
	global_load_dwordx2 v[3:4], v2, s[6:7] offset:40
	global_load_dwordx2 v[7:8], v2, s[6:7]
	s_waitcnt vmcnt(1)
	v_and_b32_e32 v4, v4, v6
	v_and_b32_e32 v3, v3, v5
	v_mul_lo_u32 v4, v4, 24
	v_mul_hi_u32 v9, v3, 24
	v_mul_lo_u32 v3, v3, 24
	v_add_nc_u32_e32 v4, v9, v4
	s_waitcnt vmcnt(0)
	v_add_co_u32 v3, vcc_lo, v7, v3
	v_add_co_ci_u32_e64 v4, null, v8, v4, vcc_lo
	global_load_dwordx2 v[3:4], v[3:4], off glc dlc
	s_waitcnt vmcnt(0)
	global_atomic_cmpswap_x2 v[8:9], v2, v[3:6], s[6:7] offset:24 glc
	s_waitcnt vmcnt(0)
	buffer_gl1_inv
	buffer_gl0_inv
	v_cmpx_ne_u64_e64 v[8:9], v[5:6]
	s_cbranch_execz .LBB3_369
; %bb.366:
	s_mov_b32 s11, 0
	.p2align	6
.LBB3_367:                              ; =>This Inner Loop Header: Depth=1
	s_sleep 1
	s_clause 0x1
	global_load_dwordx2 v[3:4], v2, s[6:7] offset:40
	global_load_dwordx2 v[10:11], v2, s[6:7]
	v_mov_b32_e32 v5, v8
	v_mov_b32_e32 v6, v9
	s_waitcnt vmcnt(1)
	v_and_b32_e32 v3, v3, v5
	v_and_b32_e32 v4, v4, v6
	s_waitcnt vmcnt(0)
	v_mad_u64_u32 v[7:8], null, v3, 24, v[10:11]
	v_mov_b32_e32 v3, v8
	v_mad_u64_u32 v[3:4], null, v4, 24, v[3:4]
	v_mov_b32_e32 v8, v3
	global_load_dwordx2 v[3:4], v[7:8], off glc dlc
	s_waitcnt vmcnt(0)
	global_atomic_cmpswap_x2 v[8:9], v2, v[3:6], s[6:7] offset:24 glc
	s_waitcnt vmcnt(0)
	buffer_gl1_inv
	buffer_gl0_inv
	v_cmp_eq_u64_e32 vcc_lo, v[8:9], v[5:6]
	s_or_b32 s11, vcc_lo, s11
	s_andn2_b32 exec_lo, exec_lo, s11
	s_cbranch_execnz .LBB3_367
; %bb.368:
	s_or_b32 exec_lo, exec_lo, s11
.LBB3_369:
	s_or_b32 exec_lo, exec_lo, s10
.LBB3_370:
	s_or_b32 exec_lo, exec_lo, s5
	v_mov_b32_e32 v2, 0
	v_readfirstlane_b32 s11, v9
	v_readfirstlane_b32 s10, v8
	s_mov_b32 s5, exec_lo
	s_clause 0x1
	global_load_dwordx2 v[10:11], v2, s[6:7] offset:40
	global_load_dwordx4 v[4:7], v2, s[6:7]
	s_waitcnt vmcnt(1)
	v_readfirstlane_b32 s12, v10
	v_readfirstlane_b32 s13, v11
	s_and_b64 s[12:13], s[12:13], s[10:11]
	s_mul_i32 s15, s13, 24
	s_mul_hi_u32 s16, s12, 24
	s_mul_i32 s17, s12, 24
	s_add_i32 s16, s16, s15
	s_waitcnt vmcnt(0)
	v_add_co_u32 v8, vcc_lo, v4, s17
	v_add_co_ci_u32_e64 v9, null, s16, v5, vcc_lo
	s_and_saveexec_b32 s15, s4
	s_cbranch_execz .LBB3_372
; %bb.371:
	v_mov_b32_e32 v10, s5
	v_mov_b32_e32 v11, v2
	;; [unrolled: 1-line block ×4, first 2 shown]
	global_store_dwordx4 v[8:9], v[10:13], off offset:8
.LBB3_372:
	s_or_b32 exec_lo, exec_lo, s15
	s_lshl_b64 s[12:13], s[12:13], 12
	s_mov_b32 s16, 0
	v_add_co_u32 v6, vcc_lo, v6, s12
	v_add_co_ci_u32_e64 v7, null, s13, v7, vcc_lo
	s_mov_b32 s17, s16
	v_readfirstlane_b32 s12, v6
	v_add_co_u32 v6, vcc_lo, v6, v33
	s_mov_b32 s18, s16
	s_mov_b32 s19, s16
	v_and_or_b32 v0, 0xffffff1f, v0, 32
	v_mov_b32_e32 v3, v2
	v_readfirstlane_b32 s13, v7
	v_mov_b32_e32 v10, s16
	v_add_co_ci_u32_e64 v7, null, 0, v7, vcc_lo
	v_mov_b32_e32 v11, s17
	v_mov_b32_e32 v12, s18
	;; [unrolled: 1-line block ×3, first 2 shown]
	global_store_dwordx4 v33, v[0:3], s[12:13]
	global_store_dwordx4 v33, v[10:13], s[12:13] offset:16
	global_store_dwordx4 v33, v[10:13], s[12:13] offset:32
	;; [unrolled: 1-line block ×3, first 2 shown]
	s_and_saveexec_b32 s5, s4
	s_cbranch_execz .LBB3_380
; %bb.373:
	v_mov_b32_e32 v10, 0
	v_mov_b32_e32 v11, s10
	;; [unrolled: 1-line block ×3, first 2 shown]
	s_clause 0x1
	global_load_dwordx2 v[13:14], v10, s[6:7] offset:32 glc dlc
	global_load_dwordx2 v[0:1], v10, s[6:7] offset:40
	s_waitcnt vmcnt(0)
	v_readfirstlane_b32 s12, v0
	v_readfirstlane_b32 s13, v1
	s_and_b64 s[12:13], s[12:13], s[10:11]
	s_mul_i32 s13, s13, 24
	s_mul_hi_u32 s15, s12, 24
	s_mul_i32 s12, s12, 24
	s_add_i32 s15, s15, s13
	v_add_co_u32 v4, vcc_lo, v4, s12
	v_add_co_ci_u32_e64 v5, null, s15, v5, vcc_lo
	s_mov_b32 s12, exec_lo
	global_store_dwordx2 v[4:5], v[13:14], off
	s_waitcnt_vscnt null, 0x0
	global_atomic_cmpswap_x2 v[2:3], v10, v[11:14], s[6:7] offset:32 glc
	s_waitcnt vmcnt(0)
	v_cmpx_ne_u64_e64 v[2:3], v[13:14]
	s_cbranch_execz .LBB3_376
; %bb.374:
	s_mov_b32 s13, 0
.LBB3_375:                              ; =>This Inner Loop Header: Depth=1
	v_mov_b32_e32 v0, s10
	v_mov_b32_e32 v1, s11
	s_sleep 1
	global_store_dwordx2 v[4:5], v[2:3], off
	s_waitcnt_vscnt null, 0x0
	global_atomic_cmpswap_x2 v[0:1], v10, v[0:3], s[6:7] offset:32 glc
	s_waitcnt vmcnt(0)
	v_cmp_eq_u64_e32 vcc_lo, v[0:1], v[2:3]
	v_mov_b32_e32 v3, v1
	v_mov_b32_e32 v2, v0
	s_or_b32 s13, vcc_lo, s13
	s_andn2_b32 exec_lo, exec_lo, s13
	s_cbranch_execnz .LBB3_375
.LBB3_376:
	s_or_b32 exec_lo, exec_lo, s12
	v_mov_b32_e32 v3, 0
	s_mov_b32 s13, exec_lo
	s_mov_b32 s12, exec_lo
	v_mbcnt_lo_u32_b32 v2, s13, 0
	global_load_dwordx2 v[0:1], v3, s[6:7] offset:16
	v_cmpx_eq_u32_e32 0, v2
	s_cbranch_execz .LBB3_378
; %bb.377:
	s_bcnt1_i32_b32 s13, s13
	v_mov_b32_e32 v2, s13
	s_waitcnt vmcnt(0)
	global_atomic_add_x2 v[0:1], v[2:3], off offset:8
.LBB3_378:
	s_or_b32 exec_lo, exec_lo, s12
	s_waitcnt vmcnt(0)
	global_load_dwordx2 v[2:3], v[0:1], off offset:16
	s_waitcnt vmcnt(0)
	v_cmp_eq_u64_e32 vcc_lo, 0, v[2:3]
	s_cbranch_vccnz .LBB3_380
; %bb.379:
	global_load_dword v0, v[0:1], off offset:24
	v_mov_b32_e32 v1, 0
	s_waitcnt vmcnt(0)
	v_readfirstlane_b32 s12, v0
	s_waitcnt_vscnt null, 0x0
	global_store_dwordx2 v[2:3], v[0:1], off
	s_and_b32 m0, s12, 0x7fffff
	s_sendmsg sendmsg(MSG_INTERRUPT)
.LBB3_380:
	s_or_b32 exec_lo, exec_lo, s5
	s_branch .LBB3_384
	.p2align	6
.LBB3_381:                              ;   in Loop: Header=BB3_384 Depth=1
	s_or_b32 exec_lo, exec_lo, s5
	v_readfirstlane_b32 s5, v0
	s_cmp_eq_u32 s5, 0
	s_cbranch_scc1 .LBB3_383
; %bb.382:                              ;   in Loop: Header=BB3_384 Depth=1
	s_sleep 1
	s_cbranch_execnz .LBB3_384
	s_branch .LBB3_386
	.p2align	6
.LBB3_383:
	s_branch .LBB3_386
.LBB3_384:                              ; =>This Inner Loop Header: Depth=1
	v_mov_b32_e32 v0, 1
	s_and_saveexec_b32 s5, s4
	s_cbranch_execz .LBB3_381
; %bb.385:                              ;   in Loop: Header=BB3_384 Depth=1
	global_load_dword v0, v[8:9], off offset:20 glc dlc
	s_waitcnt vmcnt(0)
	buffer_gl1_inv
	buffer_gl0_inv
	v_and_b32_e32 v0, 1, v0
	s_branch .LBB3_381
.LBB3_386:
	global_load_dwordx2 v[0:1], v[6:7], off
	s_and_saveexec_b32 s12, s4
	s_cbranch_execz .LBB3_390
; %bb.387:
	v_mov_b32_e32 v8, 0
	s_clause 0x2
	global_load_dwordx2 v[2:3], v8, s[6:7] offset:40
	global_load_dwordx2 v[11:12], v8, s[6:7] offset:24 glc dlc
	global_load_dwordx2 v[4:5], v8, s[6:7]
	s_waitcnt vmcnt(2)
	v_readfirstlane_b32 s16, v2
	v_readfirstlane_b32 s17, v3
	s_add_u32 s13, s16, 1
	s_addc_u32 s15, s17, 0
	s_add_u32 s4, s13, s10
	s_addc_u32 s5, s15, s11
	s_cmp_eq_u64 s[4:5], 0
	s_cselect_b32 s5, s15, s5
	s_cselect_b32 s4, s13, s4
	v_mov_b32_e32 v10, s5
	s_and_b64 s[10:11], s[4:5], s[16:17]
	v_mov_b32_e32 v9, s4
	s_mul_i32 s11, s11, 24
	s_mul_hi_u32 s13, s10, 24
	s_mul_i32 s10, s10, 24
	s_add_i32 s13, s13, s11
	s_waitcnt vmcnt(0)
	v_add_co_u32 v6, vcc_lo, v4, s10
	v_add_co_ci_u32_e64 v7, null, s13, v5, vcc_lo
	global_store_dwordx2 v[6:7], v[11:12], off
	s_waitcnt_vscnt null, 0x0
	global_atomic_cmpswap_x2 v[4:5], v8, v[9:12], s[6:7] offset:24 glc
	s_waitcnt vmcnt(0)
	v_cmp_ne_u64_e32 vcc_lo, v[4:5], v[11:12]
	s_and_b32 exec_lo, exec_lo, vcc_lo
	s_cbranch_execz .LBB3_390
; %bb.388:
	s_mov_b32 s10, 0
.LBB3_389:                              ; =>This Inner Loop Header: Depth=1
	v_mov_b32_e32 v2, s4
	v_mov_b32_e32 v3, s5
	s_sleep 1
	global_store_dwordx2 v[6:7], v[4:5], off
	s_waitcnt_vscnt null, 0x0
	global_atomic_cmpswap_x2 v[2:3], v8, v[2:5], s[6:7] offset:24 glc
	s_waitcnt vmcnt(0)
	v_cmp_eq_u64_e32 vcc_lo, v[2:3], v[4:5]
	v_mov_b32_e32 v5, v3
	v_mov_b32_e32 v4, v2
	s_or_b32 s10, vcc_lo, s10
	s_andn2_b32 exec_lo, exec_lo, s10
	s_cbranch_execnz .LBB3_389
.LBB3_390:
	s_or_b32 exec_lo, exec_lo, s12
.LBB3_391:
	s_or_b32 exec_lo, exec_lo, s14
	s_getpc_b64 s[4:5]
	s_add_u32 s4, s4, .str.4@rel32@lo+4
	s_addc_u32 s5, s5, .str.4@rel32@hi+12
	s_getpc_b64 s[6:7]
	s_add_u32 s6, s6, .str.4@rel32@lo+32
	s_addc_u32 s7, s7, .str.4@rel32@hi+40
	s_sub_i32 s10, s6, s4
	s_getpc_b64 s[6:7]
	s_add_u32 s6, s6, __ockl_fprintf_append_string_n@rel32@lo+4
	s_addc_u32 s7, s7, __ockl_fprintf_append_string_n@rel32@hi+12
	s_ashr_i32 s11, s10, 31
	v_mov_b32_e32 v2, s4
	v_mov_b32_e32 v3, s5
	;; [unrolled: 1-line block ×5, first 2 shown]
	s_swappc_b64 s[30:31], s[6:7]
	s_trap 2
.Lfunc_end3:
	.size	__assert_fail, .Lfunc_end3-__assert_fail
                                        ; -- End function
	.set .L__assert_fail.num_vgpr, max(40, .L__ockl_fprintf_append_string_n.num_vgpr)
	.set .L__assert_fail.num_agpr, max(0, .L__ockl_fprintf_append_string_n.num_agpr)
	.set .L__assert_fail.numbered_sgpr, max(34, .L__ockl_fprintf_append_string_n.numbered_sgpr)
	.set .L__assert_fail.num_named_barrier, max(0, .L__ockl_fprintf_append_string_n.num_named_barrier)
	.set .L__assert_fail.private_seg_size, 64+max(.L__ockl_fprintf_append_string_n.private_seg_size)
	.set .L__assert_fail.uses_vcc, or(1, .L__ockl_fprintf_append_string_n.uses_vcc)
	.set .L__assert_fail.uses_flat_scratch, or(0, .L__ockl_fprintf_append_string_n.uses_flat_scratch)
	.set .L__assert_fail.has_dyn_sized_stack, or(0, .L__ockl_fprintf_append_string_n.has_dyn_sized_stack)
	.set .L__assert_fail.has_recursion, or(0, .L__ockl_fprintf_append_string_n.has_recursion)
	.set .L__assert_fail.has_indirect_call, or(0, .L__ockl_fprintf_append_string_n.has_indirect_call)
	.section	.AMDGPU.csdata,"",@progbits
; Function info:
; codeLenInByte = 15432
; TotalNumSgprs: 36
; NumVgprs: 40
; ScratchSize: 64
; MemoryBound: 0
	.text
	.p2align	2                               ; -- Begin function _ZN12_GLOBAL__N_17runRingIa7FuncSumIaE11ProtoSimpleILi1ELi1ELi0ELi1ELi0ELi0EELi0ELi1ELi0EEEviiP15ncclDevWorkColl
	.type	_ZN12_GLOBAL__N_17runRingIa7FuncSumIaE11ProtoSimpleILi1ELi1ELi0ELi1ELi0ELi0EELi0ELi1ELi0EEEviiP15ncclDevWorkColl,@function
_ZN12_GLOBAL__N_17runRingIa7FuncSumIaE11ProtoSimpleILi1ELi1ELi0ELi1ELi0ELi0EELi0ELi1ELi0EEEviiP15ncclDevWorkColl: ; @_ZN12_GLOBAL__N_17runRingIa7FuncSumIaE11ProtoSimpleILi1ELi1ELi0ELi1ELi0ELi0EELi0ELi1ELi0EEEviiP15ncclDevWorkColl
; %bb.0:
	s_waitcnt vmcnt(0) expcnt(0) lgkmcnt(0)
	s_mov_b32 s72, s33
	s_mov_b32 s33, s32
	s_or_saveexec_b32 s4, -1
	buffer_store_dword v59, off, s[0:3], s33 offset:44 ; 4-byte Folded Spill
	s_mov_b32 exec_lo, s4
	s_addk_i32 s32, 0x800
	buffer_store_dword v40, off, s[0:3], s33 offset:40 ; 4-byte Folded Spill
	buffer_store_dword v41, off, s[0:3], s33 offset:36 ; 4-byte Folded Spill
	;; [unrolled: 1-line block ×10, first 2 shown]
	buffer_store_dword v58, off, s[0:3], s33 ; 4-byte Folded Spill
	v_writelane_b32 v59, s30, 0
	v_writelane_b32 v59, s31, 1
	s_trap 2
	ds_read_b64 v[4:5], v0
	s_clause 0x1
	flat_load_dwordx2 v[16:17], v[2:3]
	flat_load_ushort v9, v[2:3] offset:8
	ds_read_b32 v6, v0
                                        ; implicit-def: $vgpr34_vgpr35
                                        ; implicit-def: $vgpr14_vgpr15
	s_waitcnt lgkmcnt(3)
	flat_load_dwordx2 v[32:33], v[4:5]
                                        ; implicit-def: $vgpr4_vgpr5
	s_waitcnt vmcnt(2) lgkmcnt(3)
	v_mov_b32_e32 v8, v17
	s_waitcnt lgkmcnt(1)
	v_cmp_ne_u32_sdwa s4, v6, v16 src0_sel:DWORD src1_sel:BYTE_0
	s_and_saveexec_b32 s5, s4
	s_xor_b32 s4, exec_lo, s5
	s_cbranch_execz .LBB4_6
; %bb.1:
	v_not_b32_sdwa v10, v16 dst_sel:DWORD dst_unused:UNUSED_PAD src0_sel:BYTE_0
	v_cmp_ne_u32_sdwa s5, v6, v16 src0_sel:DWORD src1_sel:BYTE_1
                                        ; implicit-def: $vgpr34_vgpr35
                                        ; implicit-def: $vgpr4_vgpr5
                                        ; implicit-def: $vgpr14_vgpr15
	s_and_saveexec_b32 s6, s5
	s_xor_b32 s5, exec_lo, s6
	s_cbranch_execz .LBB4_3
; %bb.2:
	s_clause 0x1
	flat_load_dwordx4 v[17:20], v[2:3] offset:72
	flat_load_dwordx2 v[4:5], v[2:3] offset:96
	v_add_nc_u32_e32 v6, v6, v10
                                        ; implicit-def: $vgpr10
	v_ashrrev_i32_e32 v7, 31, v6
	s_waitcnt vmcnt(1) lgkmcnt(1)
	v_mul_lo_u32 v7, v19, v7
	v_mad_u64_u32 v[14:15], null, v19, v6, v[17:18]
	v_mul_lo_u32 v6, v20, v6
	s_waitcnt vmcnt(0) lgkmcnt(0)
	v_lshrrev_b64 v[34:35], 21, v[4:5]
	v_mov_b32_e32 v4, v19
	v_mov_b32_e32 v5, v20
	v_add3_u32 v15, v6, v15, v7
.LBB4_3:
	s_andn2_saveexec_b32 s5, s5
	s_cbranch_execz .LBB4_5
; %bb.4:
	s_clause 0x1
	flat_load_dwordx4 v[17:20], v[2:3] offset:72
	flat_load_dwordx4 v[4:7], v[2:3] offset:88
	s_waitcnt vmcnt(0) lgkmcnt(0)
	v_add_nc_u32_sdwa v6, v16, v10 dst_sel:DWORD dst_unused:UNUSED_PAD src0_sel:BYTE_1 src1_sel:DWORD
	v_ashrrev_i32_e32 v10, 31, v6
	v_mul_lo_u32 v10, v19, v10
	v_mad_u64_u32 v[14:15], null, v19, v6, v[17:18]
	v_mul_lo_u32 v6, v20, v6
	v_lshrrev_b32_e32 v34, 10, v7
	v_add3_u32 v15, v6, v15, v10
.LBB4_5:
	s_or_b32 exec_lo, exec_lo, s5
.LBB4_6:
	s_andn2_saveexec_b32 s4, s4
	s_cbranch_execz .LBB4_8
; %bb.7:
	s_clause 0x1
	flat_load_dwordx2 v[4:5], v[2:3] offset:72
	flat_load_dwordx2 v[34:35], v[2:3] offset:96
	v_mov_b32_e32 v14, 0
	v_mov_b32_e32 v15, 0
.LBB4_8:
	s_or_b32 exec_lo, exec_lo, s4
	flat_load_dwordx4 v[10:13], v[2:3] offset:16
	v_and_b32_e32 v6, 0x44000000, v16
	v_bfe_u32 v38, v8, 1, 30
	s_mov_b32 s4, exec_lo
	v_cmp_eq_u32_e64 s13, 0x44000000, v6
	v_cndmask_b32_e64 v30, v1, 32, s13
	v_cmpx_ge_i32_e64 v0, v30
	s_xor_b32 s5, exec_lo, s4
	s_cbranch_execz .LBB4_38
; %bb.9:
	s_waitcnt vmcnt(0) lgkmcnt(0)
	v_cmp_ne_u64_e32 vcc_lo, v[12:13], v[10:11]
	v_cmp_eq_u32_e64 s4, v32, v38
	s_and_b32 s4, vcc_lo, s4
	s_and_saveexec_b32 s6, s4
	s_cbranch_execz .LBB4_37
; %bb.10:
	v_sub_nc_u32_e32 v16, v0, v30
	s_mov_b32 s7, 0
	s_mov_b32 s4, exec_lo
	v_ashrrev_i16 v0, 15, v16
	v_lshrrev_b16 v0, 11, v0
	v_add_nc_u16 v0, v16, v0
	v_and_b32_e32 v2, 0xffffffe0, v0
	v_sub_nc_u16 v17, v16, v2
	v_cmpx_gt_i16_e32 1, v17
; %bb.11:
	v_add_nc_u32_e32 v2, v12, v14
	v_add_nc_u32_e32 v3, v10, v14
	v_or_b32_e32 v2, v2, v3
	v_and_b32_e32 v2, 15, v2
	v_cmp_ne_u32_e32 vcc_lo, 0, v2
	s_and_b32 s7, vcc_lo, exec_lo
; %bb.12:
	s_or_b32 exec_lo, exec_lo, s4
	v_cndmask_b32_e64 v2, 0, 1, s7
	v_sub_nc_u32_e32 v9, v1, v30
	v_cmp_ne_u32_e32 vcc_lo, 0, v2
	s_cbranch_vccz .LBB4_14
; %bb.13:
	v_mov_b32_e32 v0, 0
	v_mov_b32_e32 v1, 0
	s_mov_b32 s4, -1
	s_and_b32 exec_lo, exec_lo, s4
	s_cbranch_execnz .LBB4_29
	s_branch .LBB4_37
.LBB4_14:
	v_ashrrev_i32_e32 v1, 31, v5
	v_ashrrev_i16 v2, 5, v0
	s_mov_b32 s10, 0
	s_mov_b32 s7, exec_lo
	v_lshrrev_b32_e32 v1, 22, v1
	v_bfe_i32 v2, v2, 0, 16
	v_add_co_u32 v0, vcc_lo, v4, v1
	v_add_co_ci_u32_e64 v1, null, 0, v5, vcc_lo
	v_ashrrev_i32_e32 v3, 31, v2
	v_ashrrev_i64 v[0:1], 10, v[0:1]
	v_sub_co_u32 v6, vcc_lo, v0, v2
	v_sub_co_ci_u32_e64 v7, null, v1, v3, vcc_lo
	v_cmpx_lt_i64_e32 0, v[6:7]
	s_cbranch_execz .LBB4_18
; %bb.15:
	v_ashrrev_i16 v3, 15, v9
	v_mov_b32_e32 v8, 4
	v_mov_b32_e32 v16, 10
	v_lshrrev_b16 v3, 11, v3
	v_lshlrev_b32_sdwa v8, v8, sext(v17) dst_sel:DWORD dst_unused:UNUSED_PAD src0_sel:DWORD src1_sel:WORD_0
	v_add_nc_u16 v3, v9, v3
	v_lshl_add_u32 v18, v2, 10, v8
	v_ashrrev_i16 v3, 5, v3
	v_ashrrev_i32_e32 v19, 31, v18
	v_add_co_u32 v18, vcc_lo, v14, v18
	v_bfe_i32 v2, v3, 0, 16
	v_lshlrev_b32_sdwa v3, v16, sext(v3) dst_sel:DWORD dst_unused:UNUSED_PAD src0_sel:DWORD src1_sel:WORD_0
	v_add_co_ci_u32_e64 v19, null, v15, v19, vcc_lo
	v_ashrrev_i32_e32 v8, 31, v2
	v_ashrrev_i32_e32 v16, 31, v3
	.p2align	6
.LBB4_16:                               ; =>This Inner Loop Header: Depth=1
	v_add_co_u32 v24, vcc_lo, v12, v18
	v_add_co_ci_u32_e64 v25, null, v13, v19, vcc_lo
	v_sub_co_u32 v6, vcc_lo, v6, v2
	v_sub_co_ci_u32_e64 v7, null, v7, v8, vcc_lo
	s_clause 0x1
	global_load_dwordx4 v[20:23], v[24:25], off slc
	global_load_dwordx4 v[24:27], v[24:25], off offset:512 slc
	v_add_co_u32 v28, vcc_lo, v10, v18
	v_add_co_ci_u32_e64 v29, null, v11, v19, vcc_lo
	v_cmp_gt_i64_e32 vcc_lo, 1, v[6:7]
	v_add_co_u32 v18, s4, v18, v3
	v_add_co_ci_u32_e64 v19, null, v19, v16, s4
	s_waitcnt vmcnt(1)
	global_store_dwordx4 v[28:29], v[20:23], off glc slc
	s_waitcnt vmcnt(0)
	global_store_dwordx4 v[28:29], v[24:27], off offset:512 glc slc
	s_or_b32 s10, vcc_lo, s10
	s_andn2_b32 exec_lo, exec_lo, s10
	s_cbranch_execnz .LBB4_16
; %bb.17:
	s_or_b32 exec_lo, exec_lo, s10
.LBB4_18:
	s_or_b32 exec_lo, exec_lo, s7
	v_lshlrev_b64 v[7:8], 10, v[0:1]
	v_mov_b32_e32 v0, 0
	v_mov_b32_e32 v1, 0
	s_mov_b32 s4, 0
	s_mov_b32 s7, exec_lo
                                        ; implicit-def: $vgpr2_vgpr3
                                        ; implicit-def: $vgpr16
	v_cmpx_ne_u64_e64 v[4:5], v[7:8]
	s_cbranch_execz .LBB4_28
; %bb.19:
	v_sub_co_u32 v16, vcc_lo, v4, v7
	v_sub_co_ci_u32_e64 v20, null, v5, v8, vcc_lo
	v_mov_b32_e32 v5, 0
	v_ashrrev_i32_e32 v0, 31, v20
	v_lshrrev_b32_e32 v0, 23, v0
	v_add_co_u32 v0, vcc_lo, v16, v0
	v_add_co_ci_u32_e64 v1, null, 0, v20, vcc_lo
	v_and_b32_e32 v21, 0xfffffe00, v0
	v_ashrrev_i64 v[18:19], 9, v[0:1]
	v_sub_co_u32 v2, vcc_lo, v16, v21
	v_add_co_u32 v0, s4, v21, v7
	v_sub_co_ci_u32_e64 v3, null, v20, v1, vcc_lo
	v_add_co_ci_u32_e64 v1, null, v1, v8, s4
	s_mov_b32 s4, exec_lo
	v_cmpx_lt_i64_e32 15, v[2:3]
	s_cbranch_execz .LBB4_21
; %bb.20:
	v_and_b32_e32 v4, 15, v4
	v_sub_co_u32 v2, vcc_lo, v2, v4
	v_subrev_co_ci_u32_e64 v3, null, 0, v3, vcc_lo
	v_add_co_u32 v18, vcc_lo, v18, 1
	v_add_co_ci_u32_e64 v19, null, 0, v19, vcc_lo
	v_add_co_u32 v0, vcc_lo, v2, v0
	v_add_co_ci_u32_e64 v1, null, v3, v1, vcc_lo
	v_mov_b32_e32 v2, v4
	v_mov_b32_e32 v3, v5
.LBB4_21:
	s_or_b32 exec_lo, exec_lo, s4
	v_lshlrev_b32_e32 v4, 5, v6
	s_mov_b32 s10, exec_lo
	v_sub_nc_u32_sdwa v4, sext(v17), v4 dst_sel:DWORD dst_unused:UNUSED_PAD src0_sel:WORD_0 src1_sel:DWORD
	v_ashrrev_i32_e32 v5, 31, v4
	v_lshrrev_b32_e32 v5, 27, v5
	v_add_nc_u32_e32 v5, v4, v5
	v_and_b32_e32 v6, 0xffffffe0, v5
	v_sub_nc_u32_e32 v6, v4, v6
	v_ashrrev_i32_e32 v4, 5, v5
	v_lshlrev_b32_e32 v5, 4, v6
	v_lshl_add_u32 v21, v4, 9, v5
	v_ashrrev_i32_e32 v5, 31, v4
	v_sub_co_u32 v4, s4, v18, v4
	v_ashrrev_i32_e32 v22, 31, v21
	v_sub_co_u32 v16, vcc_lo, v16, v21
	v_sub_co_ci_u32_e64 v5, null, v19, v5, s4
	v_sub_co_ci_u32_e64 v17, null, v20, v22, vcc_lo
	v_cmpx_lt_i64_e32 15, v[16:17]
	s_cbranch_execz .LBB4_25
; %bb.22:
	v_ashrrev_i16 v18, 15, v9
	v_mov_b32_e32 v20, 9
	s_mov_b32 s11, 0
	v_lshrrev_b16 v18, 11, v18
	v_add_nc_u16 v18, v9, v18
	v_ashrrev_i16 v19, 5, v18
	v_bfe_i32 v18, v19, 0, 16
	v_lshlrev_b32_sdwa v19, v20, sext(v19) dst_sel:DWORD dst_unused:UNUSED_PAD src0_sel:DWORD src1_sel:WORD_0
	v_add_co_u32 v20, vcc_lo, v14, v7
	v_add_co_ci_u32_e64 v23, null, v15, v8, vcc_lo
	v_ashrrev_i32_e32 v7, 31, v19
	v_add_co_u32 v20, vcc_lo, v20, v21
	v_ashrrev_i32_e32 v8, 31, v18
	v_add_co_ci_u32_e64 v21, null, v23, v22, vcc_lo
	.p2align	6
.LBB4_23:                               ; =>This Inner Loop Header: Depth=1
	v_add_co_u32 v22, vcc_lo, v12, v20
	v_add_co_ci_u32_e64 v23, null, v13, v21, vcc_lo
	v_add_co_u32 v26, vcc_lo, v10, v20
	v_add_co_ci_u32_e64 v27, null, v11, v21, vcc_lo
	global_load_dwordx4 v[22:25], v[22:23], off slc
	v_sub_co_u32 v16, vcc_lo, v16, v19
	v_sub_co_ci_u32_e64 v17, null, v17, v7, vcc_lo
	v_sub_co_u32 v4, vcc_lo, v4, v18
	v_sub_co_ci_u32_e64 v5, null, v5, v8, vcc_lo
	v_cmp_gt_i64_e32 vcc_lo, 16, v[16:17]
	v_add_co_u32 v20, s4, v20, v19
	v_add_co_ci_u32_e64 v21, null, v21, v7, s4
	s_or_b32 s11, vcc_lo, s11
	s_waitcnt vmcnt(0)
	global_store_dwordx4 v[26:27], v[22:25], off glc slc
	s_andn2_b32 exec_lo, exec_lo, s11
	s_cbranch_execnz .LBB4_23
; %bb.24:
	s_or_b32 exec_lo, exec_lo, s11
.LBB4_25:
	s_or_b32 exec_lo, exec_lo, s10
	s_mov_b32 s4, exec_lo
	v_cmpx_lt_i64_e32 0, v[4:5]
	s_cbranch_execz .LBB4_27
; %bb.26:
	v_ashrrev_i16 v7, 15, v9
	v_lshrrev_b16 v7, 11, v7
	v_add_nc_u16 v7, v9, v7
	v_ashrrev_i16 v7, 5, v7
	v_bfe_i32 v7, v7, 0, 16
	v_ashrrev_i32_e32 v8, 31, v7
	v_sub_co_u32 v4, vcc_lo, v4, v7
	v_sub_co_ci_u32_e64 v5, null, v5, v8, vcc_lo
.LBB4_27:
	s_or_b32 exec_lo, exec_lo, s4
	v_lshlrev_b32_e32 v4, 5, v4
	v_cmp_ne_u64_e32 vcc_lo, 0, v[2:3]
	v_sub_nc_u32_e32 v16, v6, v4
	s_and_b32 s4, vcc_lo, exec_lo
.LBB4_28:
	s_or_b32 exec_lo, exec_lo, s7
	v_mov_b32_e32 v5, v3
	v_mov_b32_e32 v4, v2
	s_and_b32 exec_lo, exec_lo, s4
	s_cbranch_execz .LBB4_37
.LBB4_29:
	v_ashrrev_i32_e32 v2, 31, v16
	v_ashrrev_i32_e32 v3, 31, v5
	s_mov_b32 s4, exec_lo
	v_lshrrev_b32_e32 v2, 27, v2
	v_lshrrev_b32_e32 v3, 24, v3
	v_add_nc_u32_e32 v17, v16, v2
	v_add_co_u32 v2, vcc_lo, v4, v3
	v_add_co_ci_u32_e64 v3, null, 0, v5, vcc_lo
	v_ashrrev_i32_e32 v8, 5, v17
	v_ashrrev_i64 v[6:7], 8, v[2:3]
	v_ashrrev_i32_e32 v3, 31, v8
	v_sub_co_u32 v2, vcc_lo, v6, v8
	v_sub_co_ci_u32_e64 v3, null, v7, v3, vcc_lo
	v_cmpx_lt_i64_e32 0, v[2:3]
	s_cbranch_execz .LBB4_33
; %bb.30:
	v_ashrrev_i16 v18, 15, v9
	v_and_b32_e32 v17, 0xffffffe0, v17
	v_mov_b32_e32 v19, 8
	v_add_co_u32 v25, vcc_lo, v14, v0
	v_lshrrev_b16 v18, 11, v18
	v_sub_nc_u32_e32 v17, v16, v17
	v_add_co_ci_u32_e64 v26, null, v15, v1, vcc_lo
	s_mov_b32 s7, 0
	v_add_nc_u16 v18, v9, v18
	v_lshl_add_u32 v17, v8, 8, v17
	v_ashrrev_i16 v20, 5, v18
	v_ashrrev_i32_e32 v22, 31, v17
	v_bfe_i32 v18, v20, 0, 16
	v_lshlrev_b32_sdwa v19, v19, sext(v20) dst_sel:DWORD dst_unused:UNUSED_PAD src0_sel:DWORD src1_sel:WORD_0
	v_add_co_u32 v20, vcc_lo, v25, v12
	v_add_co_ci_u32_e64 v21, null, v26, v13, vcc_lo
	v_add_co_u32 v25, vcc_lo, v25, v10
	v_ashrrev_i32_e32 v23, 31, v18
	v_ashrrev_i32_e32 v24, 31, v19
	v_add_co_ci_u32_e64 v26, null, v26, v11, vcc_lo
.LBB4_31:                               ; =>This Inner Loop Header: Depth=1
	v_add_co_u32 v27, vcc_lo, v17, v20
	v_add_co_ci_u32_e64 v28, null, v22, v21, vcc_lo
	s_clause 0x7
	flat_load_ubyte v29, v[27:28] slc
	flat_load_ubyte v30, v[27:28] offset:32 slc
	flat_load_ubyte v31, v[27:28] offset:64 slc
	;; [unrolled: 1-line block ×7, first 2 shown]
	v_add_co_u32 v27, vcc_lo, v17, v25
	v_add_co_ci_u32_e64 v28, null, v22, v26, vcc_lo
	v_sub_co_u32 v2, vcc_lo, v2, v18
	v_sub_co_ci_u32_e64 v3, null, v3, v23, vcc_lo
	v_add_co_u32 v20, vcc_lo, v20, v19
	v_add_co_ci_u32_e64 v21, null, v21, v24, vcc_lo
	v_add_co_u32 v25, vcc_lo, v25, v19
	v_add_co_ci_u32_e64 v26, null, v26, v24, vcc_lo
	v_cmp_gt_i64_e32 vcc_lo, 1, v[2:3]
	s_waitcnt vmcnt(7) lgkmcnt(7)
	flat_store_byte v[27:28], v29 glc slc
	s_waitcnt vmcnt(6) lgkmcnt(7)
	flat_store_byte v[27:28], v30 offset:32 glc slc
	s_waitcnt vmcnt(5) lgkmcnt(7)
	flat_store_byte v[27:28], v31 offset:64 glc slc
	;; [unrolled: 2-line block ×7, first 2 shown]
	s_or_b32 s7, vcc_lo, s7
	s_andn2_b32 exec_lo, exec_lo, s7
	s_cbranch_execnz .LBB4_31
; %bb.32:
	s_or_b32 exec_lo, exec_lo, s7
.LBB4_33:
	s_or_b32 exec_lo, exec_lo, s4
	v_lshlrev_b64 v[6:7], 8, v[6:7]
	v_cmp_ne_u64_e32 vcc_lo, v[4:5], v[6:7]
	s_and_b32 exec_lo, exec_lo, vcc_lo
	s_cbranch_execz .LBB4_37
; %bb.34:
	v_lshlrev_b32_e32 v3, 5, v8
	v_lshlrev_b32_e32 v2, 5, v2
	v_sub_nc_u32_e32 v3, v16, v3
	v_sub_nc_u32_e32 v8, v3, v2
	v_ashrrev_i32_e32 v16, 31, v8
	v_add_co_u32 v2, vcc_lo, v6, v8
	v_add_co_ci_u32_e64 v3, null, v7, v16, vcc_lo
	v_sub_co_u32 v2, vcc_lo, v4, v2
	v_sub_co_ci_u32_e64 v3, null, v5, v3, vcc_lo
	v_cmp_lt_i64_e32 vcc_lo, 0, v[2:3]
	s_and_b32 exec_lo, exec_lo, vcc_lo
	s_cbranch_execz .LBB4_37
; %bb.35:
	v_ashrrev_i16 v4, 15, v9
	v_mov_b32_e32 v5, 5
	s_mov_b32 s7, 0
	v_lshrrev_b16 v4, 11, v4
	v_add_nc_u16 v4, v9, v4
	v_add_co_u32 v9, vcc_lo, v14, v0
	v_add_co_ci_u32_e64 v1, null, v15, v1, vcc_lo
	v_ashrrev_i16 v4, 5, v4
	v_lshlrev_b32_sdwa v0, v5, sext(v4) dst_sel:DWORD dst_unused:UNUSED_PAD src0_sel:DWORD src1_sel:WORD_0
	v_add_co_u32 v4, vcc_lo, v9, v6
	v_add_co_ci_u32_e64 v5, null, v1, v7, vcc_lo
	v_ashrrev_i32_e32 v1, 31, v0
	v_add_co_u32 v4, vcc_lo, v4, v8
	v_add_co_ci_u32_e64 v5, null, v5, v16, vcc_lo
	.p2align	6
.LBB4_36:                               ; =>This Inner Loop Header: Depth=1
	v_add_co_u32 v6, vcc_lo, v12, v4
	v_add_co_ci_u32_e64 v7, null, v13, v5, vcc_lo
	v_sub_co_u32 v2, vcc_lo, v2, v0
	v_sub_co_ci_u32_e64 v3, null, v3, v1, vcc_lo
	flat_load_ubyte v8, v[6:7] slc
	v_add_co_u32 v6, vcc_lo, v10, v4
	v_add_co_ci_u32_e64 v7, null, v11, v5, vcc_lo
	v_cmp_gt_i64_e32 vcc_lo, 1, v[2:3]
	v_add_co_u32 v4, s4, v4, v0
	v_add_co_ci_u32_e64 v5, null, v5, v1, s4
	s_or_b32 s7, vcc_lo, s7
	s_waitcnt vmcnt(0) lgkmcnt(0)
	flat_store_byte v[6:7], v8 glc slc
	s_andn2_b32 exec_lo, exec_lo, s7
	s_cbranch_execnz .LBB4_36
.LBB4_37:
	s_or_b32 exec_lo, exec_lo, s6
                                        ; implicit-def: $vgpr32_vgpr33
                                        ; implicit-def: $vgpr14_vgpr15
                                        ; implicit-def: $vgpr4_vgpr5
                                        ; implicit-def: $vgpr34_vgpr35
                                        ; implicit-def: $vgpr38
                                        ; implicit-def: $vgpr30
                                        ; implicit-def: $vgpr0
                                        ; implicit-def: $vgpr31
                                        ; implicit-def: $vgpr12_vgpr13
                                        ; implicit-def: $vgpr8_vgpr9
                                        ; implicit-def: $vgpr2_vgpr3
.LBB4_38:
	s_andn2_saveexec_b32 s25, s5
	s_cbranch_execz .LBB4_1041
; %bb.39:
	s_trap 2
	ds_read_b64 v[6:7], v0
	s_mov_b32 s5, exec_lo
	s_waitcnt lgkmcnt(0)
	v_cmp_ne_u32_e32 vcc_lo, -1, v6
	v_cndmask_b32_e64 v37, 0, 1, vcc_lo
	v_cmp_ne_u32_e32 vcc_lo, -1, v7
	v_add_co_ci_u32_e64 v1, null, 0, v37, vcc_lo
	v_lshlrev_b32_e32 v6, 1, v1
	v_cmpx_le_u32_e64 v6, v30
	s_xor_b32 s24, exec_lo, s5
	s_cbranch_execz .LBB4_1038
; %bb.40:
	flat_load_dwordx2 v[24:25], v[2:3] offset:104
	s_trap 2
	s_load_dword s4, s[8:9], 0x0
	v_mov_b32_e32 v6, 0
	v_mov_b32_e32 v55, 4
	s_waitcnt lgkmcnt(0)
	s_cmp_lt_u32 s12, s4
	s_cselect_b32 s4, 12, 18
	s_add_u32 s4, s8, s4
	s_addc_u32 s5, s9, 0
	global_load_ushort v54, v6, s[4:5]
	ds_read_b32 v6, v0
	s_mov_b32 s5, exec_lo
	s_waitcnt lgkmcnt(0)
	v_readfirstlane_b32 s12, v6
	v_cmpx_ge_i32_e64 v0, v37
	s_cbranch_execz .LBB4_50
; %bb.41:
	v_cmp_ge_u32_e64 s4, v0, v1
                                        ; implicit-def: $vgpr55
	s_and_saveexec_b32 s6, s4
	s_xor_b32 s4, exec_lo, s6
	s_cbranch_execz .LBB4_47
; %bb.42:
	v_cndmask_b32_e64 v6, 0, 1, vcc_lo
	s_mov_b32 s6, exec_lo
	v_sub_nc_u32_e32 v6, v30, v6
	v_cmpx_ge_u32_e64 v0, v6
	s_xor_b32 s6, exec_lo, s6
; %bb.43:
                                        ; implicit-def: $vgpr1
; %bb.44:
	s_or_saveexec_b32 s6, s6
	v_mov_b32_e32 v55, 16
	s_xor_b32 exec_lo, exec_lo, s6
; %bb.45:
	v_sub_nc_u32_e32 v1, v30, v1
	v_cmp_lt_i32_e32 vcc_lo, v0, v1
	v_cndmask_b32_e64 v55, 32, 0, vcc_lo
; %bb.46:
	s_or_b32 exec_lo, exec_lo, s6
.LBB4_47:
	s_andn2_saveexec_b32 s4, s4
; %bb.48:
	v_mov_b32_e32 v55, 8
; %bb.49:
	s_or_b32 exec_lo, exec_lo, s4
.LBB4_50:
	s_or_b32 exec_lo, exec_lo, s5
	v_and_b32_e32 v1, 36, v55
	s_waitcnt vmcnt(3)
	v_mov_b32_e32 v35, -1
	v_cmp_ne_u32_e32 vcc_lo, 0, v1
	s_and_saveexec_b32 s4, vcc_lo
	s_cbranch_execz .LBB4_52
; %bb.51:
	s_trap 2
	ds_read_b32 v35, v0
.LBB4_52:
	s_or_b32 exec_lo, exec_lo, s4
	v_and_b32_e32 v1, 24, v55
	s_mov_b32 s5, exec_lo
	v_cmpx_ne_u32_e32 0, v1
	s_cbranch_execz .LBB4_54
; %bb.53:
	s_trap 2
	s_waitcnt lgkmcnt(0)
	ds_read_b32 v35, v0
.LBB4_54:
	s_or_b32 exec_lo, exec_lo, s5
	v_lshrrev_b64 v[8:9], 31, v[8:9]
	v_mov_b32_e32 v18, 0
	v_mov_b32_e32 v6, 0
	;; [unrolled: 1-line block ×4, first 2 shown]
                                        ; implicit-def: $vgpr16_vgpr17
                                        ; implicit-def: $vgpr64
                                        ; implicit-def: $vgpr22_vgpr23
                                        ; implicit-def: $vgpr28_vgpr29
                                        ; implicit-def: $vgpr20_vgpr21
	v_and_b32_e32 v1, 3, v8
	s_and_saveexec_b32 s4, vcc_lo
	s_cbranch_execz .LBB4_64
; %bb.55:
	s_trap 2
	ds_read_b64 v[6:7], v0
	s_waitcnt lgkmcnt(1)
	v_ashrrev_i32_e32 v36, 31, v35
	s_mov_b32 s5, exec_lo
                                        ; implicit-def: $vgpr16_vgpr17
	v_lshlrev_b64 v[8:9], 3, v[35:36]
	s_waitcnt lgkmcnt(0)
	v_add_co_u32 v6, vcc_lo, v6, v8
	v_add_co_ci_u32_e64 v7, null, v7, v9, vcc_lo
	v_and_b32_e32 v8, 0xffff, v1
	flat_load_dwordx2 v[6:7], v[6:7]
	s_waitcnt vmcnt(0) lgkmcnt(0)
	v_mad_u64_u32 v[26:27], null, 0xa8, v8, v[6:7]
	flat_load_dword v6, v[26:27] offset:640
	s_waitcnt vmcnt(0) lgkmcnt(0)
	v_cmpx_eq_u32_e32 1, v6
	s_cbranch_execz .LBB4_57
; %bb.56:
	flat_load_dwordx2 v[16:17], v[26:27] offset:648
	v_or_b32_e32 v55, 0x2000, v55
	s_waitcnt vmcnt(0) lgkmcnt(0)
	flat_load_dwordx2 v[6:7], v[16:17]
	s_trap 2
	s_waitcnt vmcnt(0) lgkmcnt(0)
	ds_write_b64 v0, v[6:7]
	flat_load_dwordx2 v[6:7], v[16:17] offset:8
	s_waitcnt vmcnt(0) lgkmcnt(0)
	ds_write_b64 v0, v[6:7]
	flat_load_dwordx2 v[6:7], v[16:17] offset:16
	s_waitcnt vmcnt(0) lgkmcnt(0)
	ds_write_b64 v0, v[6:7]
.LBB4_57:
	s_or_b32 exec_lo, exec_lo, s5
	flat_load_dwordx2 v[8:9], v[26:27] offset:608
	v_and_b32_e32 v6, 32, v55
	s_mov_b32 s5, exec_lo
                                        ; implicit-def: $vgpr20_vgpr21
	v_cmpx_ne_u32_e32 0, v6
	s_cbranch_execz .LBB4_59
; %bb.58:
	flat_load_dwordx2 v[20:21], v[26:27] offset:560
	s_waitcnt vmcnt(0) lgkmcnt(0)
	s_waitcnt_vscnt null, 0x0
	flat_store_dwordx2 v[20:21], v[8:9]
.LBB4_59:
	s_or_b32 exec_lo, exec_lo, s5
	v_and_b32_e32 v22, 4, v55
	v_add_co_u32 v18, vcc_lo, 0x1f8, v26
	v_mov_b32_e32 v6, 0
	v_add_co_ci_u32_e64 v19, null, 0, v27, vcc_lo
	v_mov_b32_e32 v7, 0
	v_cmp_ne_u32_e32 vcc_lo, 0, v22
                                        ; implicit-def: $vgpr64
                                        ; implicit-def: $vgpr22_vgpr23
                                        ; implicit-def: $vgpr28_vgpr29
	s_and_saveexec_b32 s5, vcc_lo
	s_cbranch_execz .LBB4_63
; %bb.60:
	v_and_b32_e32 v6, 0x800, v55
	s_mov_b32 s6, exec_lo
	v_cmpx_eq_u32_e32 0, v6
	s_cbranch_execz .LBB4_62
; %bb.61:
	s_trap 2
	ds_write_b64 v0, v[18:19]
.LBB4_62:
	s_or_b32 exec_lo, exec_lo, s6
	flat_load_dwordx2 v[20:21], v[26:27] offset:552
	s_waitcnt vmcnt(0) lgkmcnt(0)
	flat_load_dwordx2 v[28:29], v[20:21] glc dlc
	s_clause 0x2
	flat_load_dwordx2 v[6:7], v[26:27] offset:600
	flat_load_dword v64, v[26:27] offset:576
	flat_load_dwordx2 v[22:23], v[26:27] offset:520
	v_or_b32_e32 v26, 0x100, v55
	s_waitcnt vmcnt(2) lgkmcnt(2)
	v_cmp_eq_u64_e32 vcc_lo, 0, v[6:7]
	v_cndmask_b32_e32 v55, v26, v55, vcc_lo
.LBB4_63:
	s_or_b32 exec_lo, exec_lo, s5
.LBB4_64:
	s_or_b32 exec_lo, exec_lo, s4
	v_and_b32_e32 v26, 24, v55
	v_cmp_ne_u32_e32 vcc_lo, 0, v26
                                        ; implicit-def: $vgpr26_vgpr27
	s_and_saveexec_b32 s4, vcc_lo
	s_cbranch_execz .LBB4_72
; %bb.65:
	s_trap 2
	ds_read_b64 v[6:7], v0
	s_waitcnt lgkmcnt(1)
	v_ashrrev_i32_e32 v36, 31, v35
	v_and_b32_e32 v1, 0xffff, v1
	s_mov_b32 s5, exec_lo
                                        ; implicit-def: $vgpr26_vgpr27
	s_waitcnt vmcnt(0)
	v_lshlrev_b64 v[8:9], 3, v[35:36]
	s_waitcnt lgkmcnt(0)
	v_add_co_u32 v6, vcc_lo, v6, v8
	v_add_co_ci_u32_e64 v7, null, v7, v9, vcc_lo
	flat_load_dwordx2 v[6:7], v[6:7]
	s_waitcnt vmcnt(0) lgkmcnt(0)
	v_mad_u64_u32 v[18:19], null, 0xa8, v1, v[6:7]
	v_or_b32_e32 v1, 0x100, v55
	flat_load_dwordx4 v[6:9], v[18:19] offset:96
	s_waitcnt vmcnt(0) lgkmcnt(0)
	v_cmp_eq_u64_e32 vcc_lo, 0, v[6:7]
	v_cndmask_b32_e32 v55, v1, v55, vcc_lo
	v_and_b32_e32 v1, 16, v55
	v_cmpx_ne_u32_e32 0, v1
	s_cbranch_execz .LBB4_67
; %bb.66:
	s_clause 0x2
	flat_load_dwordx2 v[20:21], v[18:19] offset:48
	flat_load_dwordx2 v[26:27], v[18:19] offset:120
	;; [unrolled: 1-line block ×3, first 2 shown]
.LBB4_67:
	s_or_b32 exec_lo, exec_lo, s5
	v_and_b32_e32 v1, 8, v55
	s_mov_b32 s5, exec_lo
	v_cmpx_ne_u32_e32 0, v1
	s_cbranch_execz .LBB4_71
; %bb.68:
	v_and_b32_e32 v1, 0x800, v55
	s_mov_b32 s6, exec_lo
	v_cmpx_eq_u32_e32 0, v1
	s_cbranch_execz .LBB4_70
; %bb.69:
	s_trap 2
	ds_write_b64 v0, v[18:19]
.LBB4_70:
	s_or_b32 exec_lo, exec_lo, s6
	s_waitcnt vmcnt(2) lgkmcnt(2)
	flat_load_dwordx2 v[20:21], v[18:19] offset:56
	s_waitcnt vmcnt(0) lgkmcnt(0)
	flat_load_dwordx2 v[28:29], v[20:21] glc dlc
	s_clause 0x1
	flat_load_dword v64, v[18:19] offset:72
	flat_load_dwordx2 v[22:23], v[18:19] offset:16
.LBB4_71:
	s_or_b32 exec_lo, exec_lo, s5
.LBB4_72:
	s_or_b32 exec_lo, exec_lo, s4
	v_cmp_eq_u32_e64 s4, 0, v0
	s_and_saveexec_b32 s5, s4
	s_cbranch_execz .LBB4_74
; %bb.73:
	s_waitcnt lgkmcnt(0)
	flat_load_dwordx2 v[35:36], v[2:3] offset:32
	s_waitcnt vmcnt(3)
	v_mov_b32_e32 v48, v12
	v_mov_b32_e32 v49, v13
	;; [unrolled: 1-line block ×4, first 2 shown]
	ds_write2_b64 v0, v[48:49], v[50:51] offset1:1
	s_trap 2
	s_waitcnt vmcnt(0) lgkmcnt(1)
	ds_write_b64 v0, v[35:36]
	ds_write_b64 v0, v[24:25]
.LBB4_74:
	s_or_b32 exec_lo, exec_lo, s5
	s_waitcnt vmcnt(1)
	v_mov_b32_e32 v24, 0
	v_mov_b32_e32 v25, 0
	s_mov_b32 s26, exec_lo
	s_trap 2
	v_cmpx_ne_u64_e32 0, v[4:5]
	s_cbranch_execz .LBB4_1004
; %bb.75:
	flat_load_dword v36, v[2:3] offset:4
	v_cvt_f64_u32_e32 v[2:3], 0
	v_lshlrev_b32_e32 v24, 9, v34
	v_ashrrev_i32_e32 v39, 31, v0
	v_cmp_ne_u64_e64 s17, v[12:13], v[10:11]
	v_lshrrev_b32_e32 v66, 5, v30
	v_and_b32_e32 v69, 0x1fe0, v30
	v_and_b32_e32 v68, 0x3ffffe00, v24
	v_lshrrev_b32_e32 v10, 27, v39
	s_ashr_i32 s14, s12, 31
	v_lshlrev_b32_e32 v81, 9, v66
	v_subrev_nc_u32_e32 v83, 32, v69
	s_waitcnt lgkmcnt(1)
	v_cvt_f64_u32_e32 v[34:35], v68
	v_add_nc_u32_e32 v10, v0, v10
	s_xor_b32 s18, s13, -1
	v_add_nc_u32_e32 v85, 0xfffffe00, v81
	s_lshr_b32 s13, s14, 24
	v_ashrrev_i32_e32 v86, 31, v83
	v_ashrrev_i32_e32 v87, 5, v10
	v_and_b32_e32 v10, 0xffffffe0, v10
	s_add_i32 s13, s12, s13
	v_cmp_ne_u32_e64 s5, v32, v38
	v_cmp_ne_u32_e64 s6, v33, v38
	v_ldexp_f64 v[2:3], v[2:3], 32
	v_sub_nc_u32_e32 v99, v0, v10
	v_and_b32_e32 v38, 31, v31
	v_lshlrev_b32_e32 v67, 4, v0
	v_ashrrev_i32_e32 v96, 31, v85
	s_ashr_i32 s29, s13, 8
	v_add_co_u32 v97, s13, v83, 32
	v_cmp_eq_u32_e32 vcc_lo, 32, v30
	v_add_co_ci_u32_e64 v98, null, 0, v86, s13
	v_add_co_u32 v101, s13, 0x200, v85
	v_mov_b32_e32 v32, 0
	v_cmp_eq_u64_e64 s10, 0, v[26:27]
	v_cmp_ne_u64_e64 s11, 0, v[26:27]
	v_mov_b32_e32 v24, 0
	v_mov_b32_e32 v1, 0
	v_ashrrev_i32_e32 v65, 31, v64
	v_cmp_ne_u32_e64 s7, 32, v30
	s_waitcnt vmcnt(1)
	v_cmp_ne_u32_sdwa s27, v30, v54 src0_sel:DWORD src1_sel:WORD_0
	v_mov_b32_e32 v33, 0
	v_add_f64 v[34:35], v[2:3], v[34:35]
	v_lshlrev_b32_e32 v2, 10, v87
	v_mov_b32_e32 v70, 1
	v_mov_b32_e32 v71, 0x88
	;; [unrolled: 1-line block ×3, first 2 shown]
	v_cmp_eq_u32_e64 s12, 0, v38
	v_ashrrev_i32_e32 v80, 31, v67
	v_lshlrev_b32_e32 v82, 8, v66
	v_lshlrev_b32_e32 v84, 10, v66
	v_sub_nc_u32_e32 v100, 0, v87
	v_add_co_ci_u32_e64 v102, null, 0, v96, s13
	v_cmp_lt_i32_e64 s13, v99, v37
	v_cmp_le_i32_e64 s15, v99, v37
	v_cmp_gt_i32_e64 s16, 1, v99
	s_mov_b32 s28, 0
	s_and_b32 s40, s18, s17
	s_xor_b32 s42, vcc_lo, -1
	s_trap 2
	s_waitcnt vmcnt(0) lgkmcnt(0)
	v_and_b32_e32 v3, 1, v36
	v_lshl_add_u32 v36, v99, 4, v2
	v_cmp_eq_u32_e64 s14, 1, v3
	v_ashrrev_i32_e32 v37, 31, v36
	s_xor_b32 s41, s14, -1
	s_branch .LBB4_77
.LBB4_76:                               ;   in Loop: Header=BB4_77 Depth=1
	s_or_b32 exec_lo, exec_lo, s17
	v_add_co_u32 v32, vcc_lo, v32, v68
	v_add_co_ci_u32_e64 v33, null, 0, v33, vcc_lo
	v_cmp_ge_u64_e32 vcc_lo, v[32:33], v[4:5]
	s_or_b32 s28, vcc_lo, s28
	s_andn2_b32 exec_lo, exec_lo, s28
	s_cbranch_execz .LBB4_1003
.LBB4_77:                               ; =>This Loop Header: Depth=1
                                        ;     Child Loop BB4_96 Depth 2
                                        ;     Child Loop BB4_131 Depth 2
	;; [unrolled: 1-line block ×4, first 2 shown]
                                        ;       Child Loop BB4_215 Depth 3
                                        ;     Child Loop BB4_221 Depth 2
                                        ;       Child Loop BB4_222 Depth 3
                                        ;     Child Loop BB4_232 Depth 2
                                        ;     Child Loop BB4_237 Depth 2
                                        ;       Child Loop BB4_238 Depth 3
                                        ;     Child Loop BB4_249 Depth 2
                                        ;     Child Loop BB4_254 Depth 2
	;; [unrolled: 1-line block ×25, first 2 shown]
                                        ;       Child Loop BB4_301 Depth 3
                                        ;     Child Loop BB4_307 Depth 2
                                        ;       Child Loop BB4_308 Depth 3
                                        ;     Child Loop BB4_318 Depth 2
                                        ;     Child Loop BB4_323 Depth 2
                                        ;       Child Loop BB4_324 Depth 3
                                        ;     Child Loop BB4_335 Depth 2
                                        ;     Child Loop BB4_340 Depth 2
	;; [unrolled: 1-line block ×21, first 2 shown]
	v_sub_co_u32 v10, vcc_lo, v4, v32
	v_sub_co_ci_u32_e64 v2, null, v5, v33, vcc_lo
	v_max_f64 v[12:13], v[34:35], v[34:35]
	v_cvt_f64_u32_e32 v[10:11], v10
	s_mov_b32 s43, 0
	v_cvt_f64_u32_e32 v[2:3], v2
	v_ldexp_f64 v[2:3], v[2:3], 32
	v_add_f64 v[2:3], v[2:3], v[10:11]
	v_min_f64 v[2:3], v[12:13], v[2:3]
	v_cvt_i32_f64_e32 v10, v[2:3]
	v_max_i32_e32 v103, 0, v10
	v_cmp_gt_i32_e64 s17, 1, v10
	v_cmp_lt_i32_e64 s18, 0, v10
	v_add_nc_u32_e32 v2, 15, v103
	v_ashrrev_i32_e32 v3, 31, v2
	v_lshrrev_b32_e32 v3, 28, v3
	v_add_nc_u32_e32 v2, v2, v3
	v_and_b32_e32 v11, -16, v2
	v_add_co_u32 v2, vcc_lo, v32, v14
	v_add_co_ci_u32_e64 v3, null, v33, v15, vcc_lo
	v_max_i32_e32 v38, s29, v11
	s_and_saveexec_b32 s19, s5
	s_xor_b32 s44, exec_lo, s19
	s_cbranch_execz .LBB4_85
; %bb.78:                               ;   in Loop: Header=BB4_77 Depth=1
	s_mov_b32 s21, 0
	s_and_saveexec_b32 s19, s6
	s_xor_b32 s43, exec_lo, s19
	s_cbranch_execz .LBB4_570
; %bb.79:                               ;   in Loop: Header=BB4_77 Depth=1
	v_mov_b32_e32 v10, 0
	s_and_saveexec_b32 s45, s18
	s_cbranch_execz .LBB4_427
; %bb.80:                               ;   in Loop: Header=BB4_77 Depth=1
	s_and_saveexec_b32 s20, s4
	s_cbranch_execz .LBB4_82
; %bb.81:                               ;   in Loop: Header=BB4_77 Depth=1
	s_trap 2
	ds_read_b128 v[10:13], v0
	s_waitcnt lgkmcnt(0)
	v_add_co_u32 v39, vcc_lo, v12, v2
	v_add_co_ci_u32_e64 v48, null, v13, v3, vcc_lo
	v_cmp_ne_u64_e32 vcc_lo, 0, v[12:13]
	v_add_co_u32 v2, s19, v10, v2
	v_add_co_ci_u32_e64 v3, null, v11, v3, s19
	v_cndmask_b32_e32 v11, 0, v48, vcc_lo
	v_cndmask_b32_e32 v10, 0, v39, vcc_lo
	ds_write_b64 v0, v[2:3]
	ds_write_b64 v0, v[10:11]
.LBB4_82:                               ;   in Loop: Header=BB4_77 Depth=1
	s_or_b32 exec_lo, exec_lo, s20
	v_and_b32_e32 v2, 12, v55
	v_min_i32_e32 v38, v38, v103
	s_mov_b32 s20, exec_lo
	v_cmpx_ne_u32_e32 0, v2
	s_cbranch_execz .LBB4_123
; %bb.83:                               ;   in Loop: Header=BB4_77 Depth=1
	v_and_b32_e32 v13, 8, v55
	s_mov_b32 s21, exec_lo
	s_waitcnt vmcnt(0) lgkmcnt(1)
	v_add_co_u32 v10, vcc_lo, v28, v13
	v_add_co_ci_u32_e64 v11, null, 0, v29, vcc_lo
	v_add_co_u32 v2, vcc_lo, v8, 1
	v_add_co_ci_u32_e64 v3, null, 0, v9, vcc_lo
	v_cmpx_lt_u64_e64 v[10:11], v[2:3]
	s_cbranch_execz .LBB4_110
; %bb.84:                               ;   in Loop: Header=BB4_77 Depth=1
	v_and_b32_e32 v9, 64, v55
	s_mov_b32 s22, 0
	s_mov_b32 s56, 0
                                        ; implicit-def: $sgpr23
                                        ; implicit-def: $sgpr46
                                        ; implicit-def: $sgpr47
	v_cmp_eq_u32_e32 vcc_lo, 0, v9
	s_branch .LBB4_96
.LBB4_85:                               ;   in Loop: Header=BB4_77 Depth=1
	s_andn2_saveexec_b32 s44, s44
	s_cbranch_execz .LBB4_1001
.LBB4_86:                               ;   in Loop: Header=BB4_77 Depth=1
	s_mov_b32 s21, 0
	s_mov_b32 s20, s43
	s_and_saveexec_b32 s19, s40
	s_xor_b32 s45, exec_lo, s19
	s_cbranch_execz .LBB4_619
; %bb.87:                               ;   in Loop: Header=BB4_77 Depth=1
	v_mov_b32_e32 v10, 0
	s_and_saveexec_b32 s46, s18
	s_cbranch_execz .LBB4_478
; %bb.88:                               ;   in Loop: Header=BB4_77 Depth=1
	s_and_saveexec_b32 s20, s4
	s_cbranch_execz .LBB4_90
; %bb.89:                               ;   in Loop: Header=BB4_77 Depth=1
	s_trap 2
	ds_read2_b64 v[10:13], v0 offset1:1
	ds_read_b64 v[48:49], v0
	s_waitcnt lgkmcnt(1)
	v_add_co_u32 v10, vcc_lo, v10, v2
	v_add_co_ci_u32_e64 v11, null, v11, v3, vcc_lo
	s_waitcnt lgkmcnt(0)
	v_add_co_u32 v39, vcc_lo, v48, v2
	v_add_co_ci_u32_e64 v50, null, v49, v3, vcc_lo
	v_cmp_ne_u64_e32 vcc_lo, 0, v[48:49]
	v_add_co_u32 v2, s19, v12, v2
	v_add_co_ci_u32_e64 v3, null, v13, v3, s19
	v_cndmask_b32_e32 v13, 0, v50, vcc_lo
	v_cndmask_b32_e32 v12, 0, v39, vcc_lo
	ds_write_b64 v0, v[10:11]
	ds_write_b64 v0, v[2:3]
	;; [unrolled: 1-line block ×3, first 2 shown]
.LBB4_90:                               ;   in Loop: Header=BB4_77 Depth=1
	s_or_b32 exec_lo, exec_lo, s20
	v_and_b32_e32 v2, 8, v55
	v_min_i32_e32 v38, v38, v103
	s_mov_b32 s20, exec_lo
	v_cmpx_ne_u32_e32 0, v2
	s_cbranch_execz .LBB4_147
; %bb.91:                               ;   in Loop: Header=BB4_77 Depth=1
	s_waitcnt vmcnt(0) lgkmcnt(1)
	v_add_co_u32 v10, vcc_lo, v28, 8
	v_add_co_ci_u32_e64 v11, null, 0, v29, vcc_lo
	v_add_co_u32 v2, vcc_lo, v8, 1
	v_add_co_ci_u32_e64 v3, null, 0, v9, vcc_lo
	s_mov_b32 s21, exec_lo
	v_cmpx_lt_u64_e64 v[10:11], v[2:3]
	s_cbranch_execz .LBB4_138
; %bb.92:                               ;   in Loop: Header=BB4_77 Depth=1
	v_and_b32_e32 v9, 64, v55
	s_mov_b32 s22, 0
	s_mov_b32 s57, 0
                                        ; implicit-def: $sgpr23
                                        ; implicit-def: $sgpr47
                                        ; implicit-def: $sgpr56
	v_cmp_eq_u32_e32 vcc_lo, 0, v9
	s_branch .LBB4_103
.LBB4_93:                               ;   in Loop: Header=BB4_96 Depth=2
	s_waitcnt vmcnt(0) lgkmcnt(0)
	v_add_co_u32 v10, s19, v28, v13
	v_add_co_ci_u32_e64 v11, null, 0, v29, s19
	s_or_b32 s59, s59, exec_lo
	v_cmp_ge_u64_e64 s19, v[10:11], v[2:3]
	s_orn2_b32 s58, s19, exec_lo
.LBB4_94:                               ;   in Loop: Header=BB4_96 Depth=2
	s_or_b32 exec_lo, exec_lo, s61
	s_andn2_b32 s19, s47, exec_lo
	s_and_b32 s47, s59, exec_lo
	s_andn2_b32 s46, s46, exec_lo
	s_and_b32 s58, s58, exec_lo
	s_or_b32 s47, s19, s47
	s_or_b32 s46, s46, s58
.LBB4_95:                               ;   in Loop: Header=BB4_96 Depth=2
	s_or_b32 exec_lo, exec_lo, s57
	s_and_b32 s19, exec_lo, s46
	s_or_b32 s22, s19, s22
	s_andn2_b32 s19, s23, exec_lo
	s_and_b32 s23, s47, exec_lo
	s_or_b32 s23, s19, s23
	s_andn2_b32 exec_lo, exec_lo, s22
	s_cbranch_execz .LBB4_107
.LBB4_96:                               ;   Parent Loop BB4_77 Depth=1
                                        ; =>  This Inner Loop Header: Depth=2
	s_sleep 1
	s_waitcnt vmcnt(0) lgkmcnt(0)
	flat_load_dwordx2 v[28:29], v[20:21] glc dlc
	s_or_b32 s47, s47, exec_lo
	s_or_b32 s46, s46, exec_lo
                                        ; implicit-def: $vgpr9
	s_and_saveexec_b32 s57, vcc_lo
	s_cbranch_execz .LBB4_95
; %bb.97:                               ;   in Loop: Header=BB4_96 Depth=2
	s_cmpk_lt_i32 s56, 0x270f
	s_mov_b32 s58, -1
	s_cselect_b32 s60, -1, 0
	s_cmpk_gt_i32 s56, 0x270e
	s_cbranch_scc0 .LBB4_99
; %bb.98:                               ;   in Loop: Header=BB4_96 Depth=2
	s_trap 2
	ds_read_b64 v[9:10], v0
	s_andn2_b32 s56, s60, exec_lo
	s_mov_b32 s59, 0
	s_waitcnt vmcnt(0) lgkmcnt(0)
	s_waitcnt_vscnt null, 0x0
	flat_load_dword v9, v[9:10] glc dlc
	s_waitcnt vmcnt(0) lgkmcnt(0)
	buffer_gl1_inv
	buffer_gl0_inv
	v_cmp_eq_u32_e64 s19, 0, v9
	s_and_b32 s19, s19, exec_lo
	s_or_b32 s60, s56, s19
	s_mov_b32 s56, 0
	s_and_saveexec_b32 s61, s60
	s_cbranch_execz .LBB4_94
	s_branch .LBB4_93
.LBB4_99:                               ;   in Loop: Header=BB4_96 Depth=2
	s_add_i32 s56, s56, 1
	s_mov_b32 s59, -1
                                        ; implicit-def: $vgpr9
	s_and_saveexec_b32 s61, s60
	s_cbranch_execz .LBB4_94
	s_branch .LBB4_93
.LBB4_100:                              ;   in Loop: Header=BB4_103 Depth=2
	s_waitcnt vmcnt(0) lgkmcnt(0)
	v_add_co_u32 v10, s19, v28, 8
	v_add_co_ci_u32_e64 v11, null, 0, v29, s19
	s_or_b32 s60, s60, exec_lo
	v_cmp_ge_u64_e64 s19, v[10:11], v[2:3]
	s_orn2_b32 s59, s19, exec_lo
.LBB4_101:                              ;   in Loop: Header=BB4_103 Depth=2
	s_or_b32 exec_lo, exec_lo, s62
	s_andn2_b32 s19, s56, exec_lo
	s_and_b32 s56, s60, exec_lo
	s_andn2_b32 s47, s47, exec_lo
	s_and_b32 s59, s59, exec_lo
	s_or_b32 s56, s19, s56
	s_or_b32 s47, s47, s59
.LBB4_102:                              ;   in Loop: Header=BB4_103 Depth=2
	s_or_b32 exec_lo, exec_lo, s58
	s_and_b32 s19, exec_lo, s47
	s_or_b32 s22, s19, s22
	s_andn2_b32 s19, s23, exec_lo
	s_and_b32 s23, s56, exec_lo
	s_or_b32 s23, s19, s23
	s_andn2_b32 exec_lo, exec_lo, s22
	s_cbranch_execz .LBB4_135
.LBB4_103:                              ;   Parent Loop BB4_77 Depth=1
                                        ; =>  This Inner Loop Header: Depth=2
	s_sleep 1
	s_waitcnt vmcnt(0) lgkmcnt(0)
	flat_load_dwordx2 v[28:29], v[20:21] glc dlc
	s_or_b32 s56, s56, exec_lo
	s_or_b32 s47, s47, exec_lo
                                        ; implicit-def: $vgpr9
	s_and_saveexec_b32 s58, vcc_lo
	s_cbranch_execz .LBB4_102
; %bb.104:                              ;   in Loop: Header=BB4_103 Depth=2
	s_cmpk_lt_i32 s57, 0x270f
	s_mov_b32 s59, -1
	s_cselect_b32 s61, -1, 0
	s_cmpk_gt_i32 s57, 0x270e
	s_cbranch_scc0 .LBB4_106
; %bb.105:                              ;   in Loop: Header=BB4_103 Depth=2
	s_trap 2
	ds_read_b64 v[9:10], v0
	s_andn2_b32 s57, s61, exec_lo
	s_mov_b32 s60, 0
	s_waitcnt vmcnt(0) lgkmcnt(0)
	s_waitcnt_vscnt null, 0x0
	flat_load_dword v9, v[9:10] glc dlc
	s_waitcnt vmcnt(0) lgkmcnt(0)
	buffer_gl1_inv
	buffer_gl0_inv
	v_cmp_eq_u32_e64 s19, 0, v9
	s_and_b32 s19, s19, exec_lo
	s_or_b32 s61, s57, s19
	s_mov_b32 s57, 0
	s_and_saveexec_b32 s62, s61
	s_cbranch_execz .LBB4_101
	s_branch .LBB4_100
.LBB4_106:                              ;   in Loop: Header=BB4_103 Depth=2
	s_add_i32 s57, s57, 1
	s_mov_b32 s60, -1
                                        ; implicit-def: $vgpr9
	s_and_saveexec_b32 s62, s61
	s_cbranch_execz .LBB4_101
	s_branch .LBB4_100
.LBB4_107:                              ;   in Loop: Header=BB4_77 Depth=1
	s_or_b32 exec_lo, exec_lo, s22
	s_xor_b32 s19, s23, -1
	s_and_saveexec_b32 s22, s19
	s_xor_b32 s19, exec_lo, s22
	s_cbranch_execz .LBB4_109
; %bb.108:                              ;   in Loop: Header=BB4_77 Depth=1
	v_or_b32_e32 v55, 64, v55
	s_waitcnt vmcnt(0) lgkmcnt(0)
	s_waitcnt_vscnt null, 0x0
	ds_write_b32 v0, v9
	s_trap 2
.LBB4_109:                              ;   in Loop: Header=BB4_77 Depth=1
	s_or_b32 exec_lo, exec_lo, s19
.LBB4_110:                              ;   in Loop: Header=BB4_77 Depth=1
	s_or_b32 exec_lo, exec_lo, s21
	v_and_b32_e32 v9, 0x108, v55
	;;#ASMSTART
	s_wakeup
	;;#ASMEND
	v_cmp_ne_u32_e32 vcc_lo, 0x108, v9
                                        ; implicit-def: $vgpr9_vgpr10
	s_and_saveexec_b32 s19, vcc_lo
	s_xor_b32 s19, exec_lo, s19
; %bb.111:                              ;   in Loop: Header=BB4_77 Depth=1
	v_and_b32_e32 v9, 7, v8
	v_mov_b32_e32 v10, v1
; %bb.112:                              ;   in Loop: Header=BB4_77 Depth=1
	s_andn2_saveexec_b32 s19, s19
	s_cbranch_execz .LBB4_114
; %bb.113:                              ;   in Loop: Header=BB4_77 Depth=1
	v_and_b32_e32 v9, 7, v8
	v_ashrrev_i32_e32 v39, 31, v38
	v_mov_b32_e32 v10, v1
	v_mad_u64_u32 v[11:12], null, v9, 24, v[6:7]
	flat_store_dwordx2 v[11:12], v[38:39] offset:8
.LBB4_114:                              ;   in Loop: Header=BB4_77 Depth=1
	s_or_b32 exec_lo, exec_lo, s19
	v_and_b32_e32 v8, 0x100, v55
	s_mov_b32 s19, -1
	s_mov_b32 s21, exec_lo
                                        ; implicit-def: $vgpr11_vgpr12
	v_cmpx_ne_u32_e32 0, v8
	s_cbranch_execz .LBB4_118
; %bb.115:                              ;   in Loop: Header=BB4_77 Depth=1
	v_mad_u64_u32 v[48:49], null, v9, 24, v[6:7]
	s_mov_b32 s22, exec_lo
	v_mov_b32_e32 v8, v49
	v_mad_u64_u32 v[11:12], null, v10, 24, v[8:9]
	v_mov_b32_e32 v49, v11
                                        ; implicit-def: $vgpr11_vgpr12
	flat_load_dword v8, v[48:49]
	s_waitcnt vmcnt(0) lgkmcnt(0)
	v_cmp_ne_u32_e32 vcc_lo, 1, v8
	v_cmpx_eq_u32_e32 1, v8
	s_cbranch_execz .LBB4_117
; %bb.116:                              ;   in Loop: Header=BB4_77 Depth=1
	flat_load_dword v11, v[48:49] offset:4 glc dlc
	s_waitcnt vmcnt(0) lgkmcnt(0)
	v_ashrrev_i32_e32 v12, 31, v11
.LBB4_117:                              ;   in Loop: Header=BB4_77 Depth=1
	s_or_b32 exec_lo, exec_lo, s22
	s_orn2_b32 s19, vcc_lo, exec_lo
.LBB4_118:                              ;   in Loop: Header=BB4_77 Depth=1
	s_or_b32 exec_lo, exec_lo, s21
	s_and_saveexec_b32 s21, s19
; %bb.119:                              ;   in Loop: Header=BB4_77 Depth=1
	v_mul_lo_u32 v8, v10, v64
	v_mul_lo_u32 v10, v9, v65
	v_mad_u64_u32 v[11:12], null, v9, v64, 0
	v_add3_u32 v12, v12, v10, v8
; %bb.120:                              ;   in Loop: Header=BB4_77 Depth=1
	s_or_b32 exec_lo, exec_lo, s21
	v_cmp_eq_u32_e32 vcc_lo, 0, v13
	v_and_b32_e32 v13, 0x2000, v55
	s_mov_b32 s19, exec_lo
	v_cndmask_b32_e32 v10, 0xd0, v71, vcc_lo
	v_add_co_u32 v8, vcc_lo, v22, v11
	v_add_co_ci_u32_e64 v9, null, v23, v12, vcc_lo
	v_add_nc_u32_e32 v10, v0, v10
	ds_write_b64 v10, v[8:9] offset:584
	v_cmpx_ne_u32_e32 0, v13
	s_cbranch_execz .LBB4_122
; %bb.121:                              ;   in Loop: Header=BB4_77 Depth=1
	ds_read_b64 v[8:9], v0 offset:872
	s_waitcnt lgkmcnt(0)
	v_add_co_u32 v8, vcc_lo, v8, 1
	v_add_co_ci_u32_e64 v9, null, 0, v9, vcc_lo
	ds_write_b64 v0, v[8:9] offset:872
.LBB4_122:                              ;   in Loop: Header=BB4_77 Depth=1
	s_or_b32 exec_lo, exec_lo, s19
	v_mov_b32_e32 v9, v3
	v_mov_b32_e32 v8, v2
.LBB4_123:                              ;   in Loop: Header=BB4_77 Depth=1
	s_or_b32 exec_lo, exec_lo, s20
	s_and_saveexec_b32 s19, s7
	s_cbranch_execz .LBB4_166
; %bb.124:                              ;   in Loop: Header=BB4_77 Depth=1
	s_and_saveexec_b32 s20, s27
	s_xor_b32 s20, exec_lo, s20
	s_cbranch_execz .LBB4_163
; %bb.125:                              ;   in Loop: Header=BB4_77 Depth=1
	s_and_saveexec_b32 s21, s12
	s_cbranch_execz .LBB4_162
; %bb.126:                              ;   in Loop: Header=BB4_77 Depth=1
	s_mov_b32 s23, exec_lo
	s_mov_b32 s22, exec_lo
	v_mbcnt_lo_u32_b32 v2, s23, 0
	s_waitcnt vmcnt(0) lgkmcnt(0)
	s_waitcnt_vscnt null, 0x0
	buffer_gl1_inv
	buffer_gl0_inv
	v_cmpx_eq_u32_e32 0, v2
	s_cbranch_execz .LBB4_128
; %bb.127:                              ;   in Loop: Header=BB4_77 Depth=1
	s_bcnt1_i32_b32 s23, s23
	v_mov_b32_e32 v3, v1
	v_mov_b32_e32 v2, s23
	ds_add_u64 v0, v[2:3]
	s_trap 2
.LBB4_128:                              ;   in Loop: Header=BB4_77 Depth=1
	s_or_b32 exec_lo, exec_lo, s22
	s_trap 2
	ds_read_b64 v[2:3], v0
	s_waitcnt lgkmcnt(0)
	buffer_gl0_inv
	v_add_co_u32 v24, vcc_lo, v24, v66
	v_add_co_ci_u32_e64 v25, null, 0, v25, vcc_lo
	s_mov_b32 s22, exec_lo
	v_cmpx_lt_u64_e64 v[2:3], v[24:25]
	s_cbranch_execz .LBB4_161
; %bb.129:                              ;   in Loop: Header=BB4_77 Depth=1
	s_mov_b32 s23, 0
	s_mov_b32 s56, 0
                                        ; implicit-def: $sgpr46
                                        ; implicit-def: $sgpr47
	s_inst_prefetch 0x1
	s_branch .LBB4_131
	.p2align	6
.LBB4_130:                              ;   in Loop: Header=BB4_131 Depth=2
	s_or_b32 exec_lo, exec_lo, s58
	s_and_b32 s57, exec_lo, s59
	s_or_b32 s23, s57, s23
	s_andn2_b32 s46, s46, exec_lo
	s_and_b32 s57, s47, exec_lo
	s_or_b32 s46, s46, s57
	s_andn2_b32 exec_lo, exec_lo, s23
	s_cbranch_execz .LBB4_159
.LBB4_131:                              ;   Parent Loop BB4_77 Depth=1
                                        ; =>  This Inner Loop Header: Depth=2
	s_add_i32 s56, s56, 1
	s_cmpk_lg_i32 s56, 0x2710
	s_cselect_b32 s57, -1, 0
	s_and_b32 vcc_lo, exec_lo, s57
	s_cbranch_vccz .LBB4_133
; %bb.132:                              ;   in Loop: Header=BB4_131 Depth=2
	s_mov_b32 s59, -1
	s_or_b32 s47, s47, exec_lo
	s_and_saveexec_b32 s58, s57
	s_cbranch_execz .LBB4_130
	s_branch .LBB4_134
	.p2align	6
.LBB4_133:                              ;   in Loop: Header=BB4_131 Depth=2
	s_trap 2
	ds_read_b64 v[2:3], v0
	s_andn2_b32 s57, s57, exec_lo
	s_mov_b32 s56, 0
	s_waitcnt lgkmcnt(0)
	flat_load_dword v2, v[2:3] glc dlc
	s_waitcnt vmcnt(0) lgkmcnt(0)
	buffer_gl1_inv
	buffer_gl0_inv
	v_cmp_eq_u32_e32 vcc_lo, 0, v2
	s_and_b32 s58, vcc_lo, exec_lo
	s_or_b32 s57, s57, s58
	s_mov_b32 s59, -1
	s_or_b32 s47, s47, exec_lo
	s_and_saveexec_b32 s58, s57
	s_cbranch_execz .LBB4_130
.LBB4_134:                              ;   in Loop: Header=BB4_131 Depth=2
	s_sleep 1
	s_trap 2
	ds_read_b64 v[2:3], v0
	s_waitcnt lgkmcnt(0)
	buffer_gl0_inv
	s_andn2_b32 s47, s47, exec_lo
	v_cmp_ge_u64_e32 vcc_lo, v[2:3], v[24:25]
	s_orn2_b32 s59, vcc_lo, exec_lo
	s_branch .LBB4_130
.LBB4_135:                              ;   in Loop: Header=BB4_77 Depth=1
	s_or_b32 exec_lo, exec_lo, s22
	s_xor_b32 s19, s23, -1
	s_and_saveexec_b32 s22, s19
	s_xor_b32 s19, exec_lo, s22
	s_cbranch_execz .LBB4_137
; %bb.136:                              ;   in Loop: Header=BB4_77 Depth=1
	v_or_b32_e32 v55, 64, v55
	s_waitcnt vmcnt(0) lgkmcnt(0)
	s_waitcnt_vscnt null, 0x0
	ds_write_b32 v0, v9
	s_trap 2
.LBB4_137:                              ;   in Loop: Header=BB4_77 Depth=1
	s_or_b32 exec_lo, exec_lo, s19
.LBB4_138:                              ;   in Loop: Header=BB4_77 Depth=1
	s_or_b32 exec_lo, exec_lo, s21
	v_and_b32_e32 v9, 0x100, v55
	v_and_b32_e32 v12, 7, v8
	s_mov_b32 s19, -1
	;;#ASMSTART
	s_wakeup
	;;#ASMEND
	v_cmp_ne_u32_e32 vcc_lo, 0, v9
                                        ; implicit-def: $vgpr8_vgpr9
	s_and_saveexec_b32 s21, vcc_lo
	s_cbranch_execz .LBB4_142
; %bb.139:                              ;   in Loop: Header=BB4_77 Depth=1
	v_mad_u64_u32 v[10:11], null, v12, 24, v[6:7]
	v_ashrrev_i32_e32 v39, 31, v38
	flat_load_dword v8, v[10:11]
	flat_store_dwordx2 v[10:11], v[38:39] offset:8
	s_waitcnt vmcnt(0) lgkmcnt(1)
	v_cmp_eq_u32_e64 s19, 1, v8
	v_cmp_ne_u32_e32 vcc_lo, 1, v8
                                        ; implicit-def: $vgpr8_vgpr9
	s_and_saveexec_b32 s22, s19
	s_cbranch_execz .LBB4_141
; %bb.140:                              ;   in Loop: Header=BB4_77 Depth=1
	flat_load_dword v8, v[10:11] offset:4 glc dlc
	s_waitcnt vmcnt(0) lgkmcnt(0)
	v_ashrrev_i32_e32 v9, 31, v8
.LBB4_141:                              ;   in Loop: Header=BB4_77 Depth=1
	s_or_b32 exec_lo, exec_lo, s22
	s_orn2_b32 s19, vcc_lo, exec_lo
.LBB4_142:                              ;   in Loop: Header=BB4_77 Depth=1
	s_or_b32 exec_lo, exec_lo, s21
	s_and_saveexec_b32 s21, s19
; %bb.143:                              ;   in Loop: Header=BB4_77 Depth=1
	v_mad_i64_i32 v[8:9], null, v12, v64, 0
; %bb.144:                              ;   in Loop: Header=BB4_77 Depth=1
	s_or_b32 exec_lo, exec_lo, s21
	v_add_co_u32 v8, vcc_lo, v22, v8
	v_and_b32_e32 v10, 0x2000, v55
	v_add_co_ci_u32_e64 v9, null, v23, v9, vcc_lo
	s_mov_b32 s19, exec_lo
	ds_write_b64 v0, v[8:9] offset:792
	v_cmpx_ne_u32_e32 0, v10
	s_cbranch_execz .LBB4_146
; %bb.145:                              ;   in Loop: Header=BB4_77 Depth=1
	ds_read_b64 v[8:9], v0 offset:872
	s_waitcnt lgkmcnt(0)
	v_add_co_u32 v8, vcc_lo, v8, 1
	v_add_co_ci_u32_e64 v9, null, 0, v9, vcc_lo
	ds_write_b64 v0, v[8:9] offset:872
.LBB4_146:                              ;   in Loop: Header=BB4_77 Depth=1
	s_or_b32 exec_lo, exec_lo, s19
	v_mov_b32_e32 v9, v3
	v_mov_b32_e32 v8, v2
.LBB4_147:                              ;   in Loop: Header=BB4_77 Depth=1
	s_or_b32 exec_lo, exec_lo, s20
	s_and_saveexec_b32 s19, s7
	s_cbranch_execz .LBB4_185
; %bb.148:                              ;   in Loop: Header=BB4_77 Depth=1
	s_and_saveexec_b32 s20, s27
	s_xor_b32 s20, exec_lo, s20
	s_cbranch_execz .LBB4_182
; %bb.149:                              ;   in Loop: Header=BB4_77 Depth=1
	s_and_saveexec_b32 s21, s12
	s_cbranch_execz .LBB4_181
; %bb.150:                              ;   in Loop: Header=BB4_77 Depth=1
	s_mov_b32 s23, exec_lo
	s_mov_b32 s22, exec_lo
	v_mbcnt_lo_u32_b32 v2, s23, 0
	s_waitcnt vmcnt(0) lgkmcnt(0)
	s_waitcnt_vscnt null, 0x0
	buffer_gl1_inv
	buffer_gl0_inv
	v_cmpx_eq_u32_e32 0, v2
	s_cbranch_execz .LBB4_152
; %bb.151:                              ;   in Loop: Header=BB4_77 Depth=1
	s_bcnt1_i32_b32 s23, s23
	v_mov_b32_e32 v3, v1
	v_mov_b32_e32 v2, s23
	ds_add_u64 v0, v[2:3]
	s_trap 2
.LBB4_152:                              ;   in Loop: Header=BB4_77 Depth=1
	s_or_b32 exec_lo, exec_lo, s22
	s_trap 2
	ds_read_b64 v[2:3], v0
	s_waitcnt lgkmcnt(0)
	buffer_gl0_inv
	v_add_co_u32 v24, vcc_lo, v24, v66
	v_add_co_ci_u32_e64 v25, null, 0, v25, vcc_lo
	s_mov_b32 s22, exec_lo
	v_cmpx_lt_u64_e64 v[2:3], v[24:25]
	s_cbranch_execz .LBB4_180
; %bb.153:                              ;   in Loop: Header=BB4_77 Depth=1
	s_mov_b32 s23, 0
	s_mov_b32 s57, 0
                                        ; implicit-def: $sgpr47
                                        ; implicit-def: $sgpr56
	s_inst_prefetch 0x1
	s_branch .LBB4_155
	.p2align	6
.LBB4_154:                              ;   in Loop: Header=BB4_155 Depth=2
	s_or_b32 exec_lo, exec_lo, s59
	s_and_b32 s58, exec_lo, s60
	s_or_b32 s23, s58, s23
	s_andn2_b32 s47, s47, exec_lo
	s_and_b32 s58, s56, exec_lo
	s_or_b32 s47, s47, s58
	s_andn2_b32 exec_lo, exec_lo, s23
	s_cbranch_execz .LBB4_178
.LBB4_155:                              ;   Parent Loop BB4_77 Depth=1
                                        ; =>  This Inner Loop Header: Depth=2
	s_add_i32 s57, s57, 1
	s_cmpk_lg_i32 s57, 0x2710
	s_cselect_b32 s58, -1, 0
	s_and_b32 vcc_lo, exec_lo, s58
	s_cbranch_vccz .LBB4_157
; %bb.156:                              ;   in Loop: Header=BB4_155 Depth=2
	s_mov_b32 s60, -1
	s_or_b32 s56, s56, exec_lo
	s_and_saveexec_b32 s59, s58
	s_cbranch_execz .LBB4_154
	s_branch .LBB4_158
	.p2align	6
.LBB4_157:                              ;   in Loop: Header=BB4_155 Depth=2
	s_trap 2
	ds_read_b64 v[2:3], v0
	s_andn2_b32 s58, s58, exec_lo
	s_mov_b32 s57, 0
	s_waitcnt lgkmcnt(0)
	flat_load_dword v2, v[2:3] glc dlc
	s_waitcnt vmcnt(0) lgkmcnt(0)
	buffer_gl1_inv
	buffer_gl0_inv
	v_cmp_eq_u32_e32 vcc_lo, 0, v2
	s_and_b32 s59, vcc_lo, exec_lo
	s_or_b32 s58, s58, s59
	s_mov_b32 s60, -1
	s_or_b32 s56, s56, exec_lo
	s_and_saveexec_b32 s59, s58
	s_cbranch_execz .LBB4_154
.LBB4_158:                              ;   in Loop: Header=BB4_155 Depth=2
	s_sleep 1
	s_trap 2
	ds_read_b64 v[2:3], v0
	s_waitcnt lgkmcnt(0)
	buffer_gl0_inv
	s_andn2_b32 s56, s56, exec_lo
	v_cmp_ge_u64_e32 vcc_lo, v[2:3], v[24:25]
	s_orn2_b32 s60, vcc_lo, exec_lo
	s_branch .LBB4_154
.LBB4_159:                              ;   in Loop: Header=BB4_77 Depth=1
	s_inst_prefetch 0x2
	s_or_b32 exec_lo, exec_lo, s23
	s_and_saveexec_b32 s23, s46
	s_xor_b32 s23, exec_lo, s23
	s_cbranch_execz .LBB4_161
; %bb.160:                              ;   in Loop: Header=BB4_77 Depth=1
	ds_write_b32 v0, v70
	s_trap 2
.LBB4_161:                              ;   in Loop: Header=BB4_77 Depth=1
	s_or_b32 exec_lo, exec_lo, s22
	;;#ASMSTART
	s_wakeup
	;;#ASMEND
.LBB4_162:                              ;   in Loop: Header=BB4_77 Depth=1
	s_or_b32 exec_lo, exec_lo, s21
.LBB4_163:                              ;   in Loop: Header=BB4_77 Depth=1
	s_andn2_saveexec_b32 s20, s20
	s_cbranch_execz .LBB4_165
; %bb.164:                              ;   in Loop: Header=BB4_77 Depth=1
	s_waitcnt vmcnt(0) lgkmcnt(0)
	s_waitcnt_vscnt null, 0x0
	buffer_gl1_inv
	buffer_gl0_inv
	s_barrier
.LBB4_165:                              ;   in Loop: Header=BB4_77 Depth=1
	s_or_b32 exec_lo, exec_lo, s20
.LBB4_166:                              ;   in Loop: Header=BB4_77 Depth=1
	s_or_b32 exec_lo, exec_lo, s19
	s_trap 2
	ds_read_b32 v10, v0
	v_and_b32_e32 v2, 0x4000, v55
	v_cmp_ne_u32_e32 vcc_lo, 0, v2
	s_and_b32 s20, s42, vcc_lo
	s_and_saveexec_b32 s19, s20
	s_cbranch_execz .LBB4_204
; %bb.167:                              ;   in Loop: Header=BB4_77 Depth=1
	s_and_saveexec_b32 s20, s27
	s_xor_b32 s20, exec_lo, s20
	s_cbranch_execz .LBB4_201
; %bb.168:                              ;   in Loop: Header=BB4_77 Depth=1
	s_and_saveexec_b32 s21, s12
	s_cbranch_execz .LBB4_200
; %bb.169:                              ;   in Loop: Header=BB4_77 Depth=1
	s_mov_b32 s23, exec_lo
	s_mov_b32 s22, exec_lo
	v_mbcnt_lo_u32_b32 v2, s23, 0
	s_waitcnt vmcnt(0) lgkmcnt(0)
	s_waitcnt_vscnt null, 0x0
	buffer_gl1_inv
	buffer_gl0_inv
	v_cmpx_eq_u32_e32 0, v2
	s_cbranch_execz .LBB4_171
; %bb.170:                              ;   in Loop: Header=BB4_77 Depth=1
	s_bcnt1_i32_b32 s23, s23
	v_mov_b32_e32 v3, v1
	v_mov_b32_e32 v2, s23
	ds_add_u64 v0, v[2:3]
	s_trap 2
.LBB4_171:                              ;   in Loop: Header=BB4_77 Depth=1
	s_or_b32 exec_lo, exec_lo, s22
	s_trap 2
	ds_read_b64 v[2:3], v0
	s_waitcnt lgkmcnt(0)
	buffer_gl0_inv
	v_add_co_u32 v24, vcc_lo, v24, v66
	v_add_co_ci_u32_e64 v25, null, 0, v25, vcc_lo
	s_mov_b32 s22, exec_lo
	v_cmpx_lt_u64_e64 v[2:3], v[24:25]
	s_cbranch_execz .LBB4_199
; %bb.172:                              ;   in Loop: Header=BB4_77 Depth=1
	s_mov_b32 s23, 0
	s_mov_b32 s56, 0
                                        ; implicit-def: $sgpr46
                                        ; implicit-def: $sgpr47
	s_inst_prefetch 0x1
	s_branch .LBB4_174
	.p2align	6
.LBB4_173:                              ;   in Loop: Header=BB4_174 Depth=2
	s_or_b32 exec_lo, exec_lo, s58
	s_and_b32 s57, exec_lo, s59
	s_or_b32 s23, s57, s23
	s_andn2_b32 s46, s46, exec_lo
	s_and_b32 s57, s47, exec_lo
	s_or_b32 s46, s46, s57
	s_andn2_b32 exec_lo, exec_lo, s23
	s_cbranch_execz .LBB4_197
.LBB4_174:                              ;   Parent Loop BB4_77 Depth=1
                                        ; =>  This Inner Loop Header: Depth=2
	s_add_i32 s56, s56, 1
	s_cmpk_lg_i32 s56, 0x2710
	s_cselect_b32 s57, -1, 0
	s_and_b32 vcc_lo, exec_lo, s57
	s_cbranch_vccz .LBB4_176
; %bb.175:                              ;   in Loop: Header=BB4_174 Depth=2
	s_mov_b32 s59, -1
	s_or_b32 s47, s47, exec_lo
	s_and_saveexec_b32 s58, s57
	s_cbranch_execz .LBB4_173
	s_branch .LBB4_177
	.p2align	6
.LBB4_176:                              ;   in Loop: Header=BB4_174 Depth=2
	s_trap 2
	ds_read_b64 v[2:3], v0
	s_andn2_b32 s57, s57, exec_lo
	s_mov_b32 s56, 0
	s_waitcnt lgkmcnt(0)
	flat_load_dword v2, v[2:3] glc dlc
	s_waitcnt vmcnt(0) lgkmcnt(0)
	buffer_gl1_inv
	buffer_gl0_inv
	v_cmp_eq_u32_e32 vcc_lo, 0, v2
	s_and_b32 s58, vcc_lo, exec_lo
	s_or_b32 s57, s57, s58
	s_mov_b32 s59, -1
	s_or_b32 s47, s47, exec_lo
	s_and_saveexec_b32 s58, s57
	s_cbranch_execz .LBB4_173
.LBB4_177:                              ;   in Loop: Header=BB4_174 Depth=2
	s_sleep 1
	s_trap 2
	ds_read_b64 v[2:3], v0
	s_waitcnt lgkmcnt(0)
	buffer_gl0_inv
	s_andn2_b32 s47, s47, exec_lo
	v_cmp_ge_u64_e32 vcc_lo, v[2:3], v[24:25]
	s_orn2_b32 s59, vcc_lo, exec_lo
	s_branch .LBB4_173
.LBB4_178:                              ;   in Loop: Header=BB4_77 Depth=1
	s_inst_prefetch 0x2
	s_or_b32 exec_lo, exec_lo, s23
	s_and_saveexec_b32 s23, s47
	s_xor_b32 s23, exec_lo, s23
	s_cbranch_execz .LBB4_180
; %bb.179:                              ;   in Loop: Header=BB4_77 Depth=1
	ds_write_b32 v0, v70
	s_trap 2
.LBB4_180:                              ;   in Loop: Header=BB4_77 Depth=1
	s_or_b32 exec_lo, exec_lo, s22
	;;#ASMSTART
	s_wakeup
	;;#ASMEND
.LBB4_181:                              ;   in Loop: Header=BB4_77 Depth=1
	s_or_b32 exec_lo, exec_lo, s21
.LBB4_182:                              ;   in Loop: Header=BB4_77 Depth=1
	s_andn2_saveexec_b32 s20, s20
	s_cbranch_execz .LBB4_184
; %bb.183:                              ;   in Loop: Header=BB4_77 Depth=1
	s_waitcnt vmcnt(0) lgkmcnt(0)
	s_waitcnt_vscnt null, 0x0
	buffer_gl1_inv
	buffer_gl0_inv
	s_barrier
.LBB4_184:                              ;   in Loop: Header=BB4_77 Depth=1
	s_or_b32 exec_lo, exec_lo, s20
.LBB4_185:                              ;   in Loop: Header=BB4_77 Depth=1
	s_or_b32 exec_lo, exec_lo, s19
	s_trap 2
	ds_read_b32 v10, v0
	v_and_b32_e32 v2, 0x4000, v55
	v_cmp_ne_u32_e32 vcc_lo, 0, v2
	s_and_b32 s20, s42, vcc_lo
	s_and_saveexec_b32 s19, s20
	s_cbranch_execz .LBB4_290
; %bb.186:                              ;   in Loop: Header=BB4_77 Depth=1
	s_and_saveexec_b32 s20, s27
	s_xor_b32 s20, exec_lo, s20
	s_cbranch_execz .LBB4_287
; %bb.187:                              ;   in Loop: Header=BB4_77 Depth=1
	s_and_saveexec_b32 s21, s12
	s_cbranch_execz .LBB4_286
; %bb.188:                              ;   in Loop: Header=BB4_77 Depth=1
	s_mov_b32 s23, exec_lo
	s_mov_b32 s22, exec_lo
	v_mbcnt_lo_u32_b32 v2, s23, 0
	s_waitcnt vmcnt(0) lgkmcnt(0)
	s_waitcnt_vscnt null, 0x0
	buffer_gl1_inv
	buffer_gl0_inv
	v_cmpx_eq_u32_e32 0, v2
	s_cbranch_execz .LBB4_190
; %bb.189:                              ;   in Loop: Header=BB4_77 Depth=1
	s_bcnt1_i32_b32 s23, s23
	v_mov_b32_e32 v3, v1
	v_mov_b32_e32 v2, s23
	ds_add_u64 v0, v[2:3]
	s_trap 2
.LBB4_190:                              ;   in Loop: Header=BB4_77 Depth=1
	s_or_b32 exec_lo, exec_lo, s22
	s_trap 2
	ds_read_b64 v[2:3], v0
	s_waitcnt lgkmcnt(0)
	buffer_gl0_inv
	v_add_co_u32 v24, vcc_lo, v24, v66
	v_add_co_ci_u32_e64 v25, null, 0, v25, vcc_lo
	s_mov_b32 s22, exec_lo
	v_cmpx_lt_u64_e64 v[2:3], v[24:25]
	s_cbranch_execz .LBB4_285
; %bb.191:                              ;   in Loop: Header=BB4_77 Depth=1
	s_mov_b32 s23, 0
	s_mov_b32 s57, 0
                                        ; implicit-def: $sgpr47
                                        ; implicit-def: $sgpr56
	s_inst_prefetch 0x1
	s_branch .LBB4_193
	.p2align	6
.LBB4_192:                              ;   in Loop: Header=BB4_193 Depth=2
	s_or_b32 exec_lo, exec_lo, s59
	s_and_b32 s58, exec_lo, s60
	s_or_b32 s23, s58, s23
	s_andn2_b32 s47, s47, exec_lo
	s_and_b32 s58, s56, exec_lo
	s_or_b32 s47, s47, s58
	s_andn2_b32 exec_lo, exec_lo, s23
	s_cbranch_execz .LBB4_283
.LBB4_193:                              ;   Parent Loop BB4_77 Depth=1
                                        ; =>  This Inner Loop Header: Depth=2
	s_add_i32 s57, s57, 1
	s_cmpk_lg_i32 s57, 0x2710
	s_cselect_b32 s58, -1, 0
	s_and_b32 vcc_lo, exec_lo, s58
	s_cbranch_vccz .LBB4_195
; %bb.194:                              ;   in Loop: Header=BB4_193 Depth=2
	s_mov_b32 s60, -1
	s_or_b32 s56, s56, exec_lo
	s_and_saveexec_b32 s59, s58
	s_cbranch_execz .LBB4_192
	s_branch .LBB4_196
	.p2align	6
.LBB4_195:                              ;   in Loop: Header=BB4_193 Depth=2
	s_trap 2
	ds_read_b64 v[2:3], v0
	s_andn2_b32 s58, s58, exec_lo
	s_mov_b32 s57, 0
	s_waitcnt lgkmcnt(0)
	flat_load_dword v2, v[2:3] glc dlc
	s_waitcnt vmcnt(0) lgkmcnt(0)
	buffer_gl1_inv
	buffer_gl0_inv
	v_cmp_eq_u32_e32 vcc_lo, 0, v2
	s_and_b32 s59, vcc_lo, exec_lo
	s_or_b32 s58, s58, s59
	s_mov_b32 s60, -1
	s_or_b32 s56, s56, exec_lo
	s_and_saveexec_b32 s59, s58
	s_cbranch_execz .LBB4_192
.LBB4_196:                              ;   in Loop: Header=BB4_193 Depth=2
	s_sleep 1
	s_trap 2
	ds_read_b64 v[2:3], v0
	s_waitcnt lgkmcnt(0)
	buffer_gl0_inv
	s_andn2_b32 s56, s56, exec_lo
	v_cmp_ge_u64_e32 vcc_lo, v[2:3], v[24:25]
	s_orn2_b32 s60, vcc_lo, exec_lo
	s_branch .LBB4_192
.LBB4_197:                              ;   in Loop: Header=BB4_77 Depth=1
	s_inst_prefetch 0x2
	s_or_b32 exec_lo, exec_lo, s23
	s_and_saveexec_b32 s23, s46
	s_xor_b32 s23, exec_lo, s23
	s_cbranch_execz .LBB4_199
; %bb.198:                              ;   in Loop: Header=BB4_77 Depth=1
	ds_write_b32 v0, v70
	s_trap 2
.LBB4_199:                              ;   in Loop: Header=BB4_77 Depth=1
	s_or_b32 exec_lo, exec_lo, s22
	;;#ASMSTART
	s_wakeup
	;;#ASMEND
.LBB4_200:                              ;   in Loop: Header=BB4_77 Depth=1
	s_or_b32 exec_lo, exec_lo, s21
.LBB4_201:                              ;   in Loop: Header=BB4_77 Depth=1
	s_andn2_saveexec_b32 s20, s20
	s_cbranch_execz .LBB4_203
; %bb.202:                              ;   in Loop: Header=BB4_77 Depth=1
	s_waitcnt vmcnt(0) lgkmcnt(0)
	s_waitcnt_vscnt null, 0x0
	buffer_gl1_inv
	buffer_gl0_inv
	s_barrier
.LBB4_203:                              ;   in Loop: Header=BB4_77 Depth=1
	s_or_b32 exec_lo, exec_lo, s20
.LBB4_204:                              ;   in Loop: Header=BB4_77 Depth=1
	s_or_b32 exec_lo, exec_lo, s19
	s_trap 2
	ds_read_b64 v[2:3], v0
	s_waitcnt lgkmcnt(0)
	v_cmp_eq_u64_e32 vcc_lo, 0, v[2:3]
	s_cbranch_vccnz .LBB4_271
; %bb.205:                              ;   in Loop: Header=BB4_77 Depth=1
	s_trap 2
	ds_read_b64 v[48:49], v0
	s_waitcnt lgkmcnt(0)
	v_cmp_eq_u64_e32 vcc_lo, 0, v[48:49]
	s_cbranch_vccnz .LBB4_271
; %bb.206:                              ;   in Loop: Header=BB4_77 Depth=1
	s_trap 2
	ds_read_b64 v[50:51], v0
	v_cmp_eq_u32_e64 s19, 0, v10
	v_cndmask_b32_e64 v39, 0, v38, s19
	s_mov_b32 s19, -1
	s_waitcnt lgkmcnt(0)
	v_cmp_ne_u64_e32 vcc_lo, 0, v[50:51]
	s_cbranch_vccz .LBB4_241
; %bb.207:                              ;   in Loop: Header=BB4_77 Depth=1
	s_and_saveexec_b32 s20, s13
	s_cbranch_execz .LBB4_209
; %bb.208:                              ;   in Loop: Header=BB4_77 Depth=1
	ds_read_b32 v10, v0 offset:720
	s_waitcnt lgkmcnt(0)
	v_and_b32_e32 v10, 15, v10
	v_cmp_eq_u32_e32 vcc_lo, 0, v10
	s_orn2_b32 s19, vcc_lo, exec_lo
.LBB4_209:                              ;   in Loop: Header=BB4_77 Depth=1
	s_or_b32 exec_lo, exec_lo, s20
	s_and_saveexec_b32 s20, s15
	s_cbranch_execz .LBB4_211
; %bb.210:                              ;   in Loop: Header=BB4_77 Depth=1
	ds_read_b32 v10, v0 offset:784
	s_waitcnt lgkmcnt(0)
	v_and_b32_e32 v10, 15, v10
	v_cmp_eq_u32_e32 vcc_lo, 0, v10
	s_and_b32 s21, s19, vcc_lo
	s_andn2_b32 s19, s19, exec_lo
	s_and_b32 s21, s21, exec_lo
	s_or_b32 s19, s19, s21
.LBB4_211:                              ;   in Loop: Header=BB4_77 Depth=1
	s_or_b32 exec_lo, exec_lo, s20
	s_xor_b32 s19, s19, -1
	v_mov_b32_e32 v52, 0
	v_cndmask_b32_e64 v10, 0, 1, s19
	v_mov_b32_e32 v53, v39
	v_mov_b32_e32 v112, v0
	s_mov_b32 s20, -1
	v_cmp_ne_u32_e32 vcc_lo, 0, v10
	v_mov_b32_e32 v10, v87
	s_cbranch_vccnz .LBB4_229
; %bb.212:                              ;   in Loop: Header=BB4_77 Depth=1
	v_ashrrev_i32_e32 v10, 31, v39
	v_sub_nc_u32_e32 v112, v39, v67
	s_mov_b32 s46, exec_lo
	v_lshrrev_b32_e32 v10, 23, v10
	v_add_nc_u32_e32 v10, v39, v10
	v_and_b32_e32 v113, 0xfffffe00, v10
	v_ashrrev_i32_e32 v10, 9, v10
	v_sub_nc_u32_e32 v115, v39, v113
	v_cmp_lt_i32_e64 s19, 15, v115
	v_add_co_ci_u32_e64 v116, null, v10, v100, s19
	v_cmpx_lt_i32_e32 15, v112
	s_cbranch_execz .LBB4_218
; %bb.213:                              ;   in Loop: Header=BB4_77 Depth=1
	v_add_co_u32 v52, vcc_lo, v2, v67
	v_add_co_ci_u32_e64 v53, null, v3, v80, vcc_lo
	v_add_co_u32 v114, vcc_lo, v48, v67
	v_add_co_ci_u32_e64 v117, null, v49, v80, vcc_lo
	;; [unrolled: 2-line block ×3, first 2 shown]
	s_mov_b32 s47, 0
	s_inst_prefetch 0x1
	.p2align	6
.LBB4_214:                              ;   Parent Loop BB4_77 Depth=1
                                        ; =>  This Loop Header: Depth=2
                                        ;       Child Loop BB4_215 Depth 3
	global_load_dwordx4 v[10:13], v[52:53], off slc
	s_mov_b64 s[22:23], 0
	s_mov_b32 s56, -1
	.p2align	6
.LBB4_215:                              ;   Parent Loop BB4_77 Depth=1
                                        ;     Parent Loop BB4_214 Depth=2
                                        ; =>    This Inner Loop Header: Depth=3
	s_cmp_eq_u32 s22, 1
	s_cselect_b32 vcc_lo, -1, 0
	s_cmp_eq_u32 s22, 0
	v_cndmask_b32_e32 v40, v114, v118, vcc_lo
	v_cndmask_b32_e32 v41, v117, v119, vcc_lo
	s_mov_b64 s[22:23], 1
	v_add_co_u32 v42, s20, 0x200, v40
	v_add_co_ci_u32_e64 v43, null, 0, v41, s20
	s_cselect_b32 s20, -1, 0
	v_cndmask_b32_e32 v118, v118, v42, vcc_lo
	v_cndmask_b32_e64 v114, v114, v42, s20
	v_cndmask_b32_e32 v119, v119, v43, vcc_lo
	v_cndmask_b32_e64 v117, v117, v43, s20
	s_and_b32 s21, exec_lo, s56
	s_mov_b32 s56, 0
	s_mov_b32 vcc_lo, s21
	s_waitcnt vmcnt(0)
	global_store_dwordx4 v[40:41], v[10:13], off glc slc
	s_cbranch_vccnz .LBB4_215
; %bb.216:                              ;   in Loop: Header=BB4_214 Depth=2
	v_sub_nc_u32_e32 v112, v112, v81
	v_add_co_u32 v114, vcc_lo, v114, v85
	v_add_co_ci_u32_e64 v117, null, v117, v96, vcc_lo
	v_add_co_u32 v118, vcc_lo, v118, v85
	v_add_co_ci_u32_e64 v119, null, v119, v96, vcc_lo
	v_cmp_gt_i32_e32 vcc_lo, 16, v112
	v_add_co_u32 v52, s20, v101, v52
	v_add_co_ci_u32_e64 v53, null, v102, v53, s20
	v_sub_nc_u32_e32 v116, v116, v66
	s_or_b32 s47, vcc_lo, s47
	s_andn2_b32 exec_lo, exec_lo, s47
	s_cbranch_execnz .LBB4_214
; %bb.217:                              ;   in Loop: Header=BB4_77 Depth=1
	s_inst_prefetch 0x2
	s_or_b32 exec_lo, exec_lo, s47
.LBB4_218:                              ;   in Loop: Header=BB4_77 Depth=1
	s_or_b32 exec_lo, exec_lo, s46
	v_and_b32_e32 v11, 15, v39
	v_mov_b32_e32 v52, 0
	s_mov_b32 s20, 0
	s_mov_b32 s46, exec_lo
                                        ; implicit-def: $vgpr53
                                        ; implicit-def: $vgpr112
                                        ; implicit-def: $vgpr10
	v_cndmask_b32_e64 v114, v115, v11, s19
	v_cmpx_ne_u32_e32 0, v114
	s_cbranch_execz .LBB4_228
; %bb.219:                              ;   in Loop: Header=BB4_77 Depth=1
	v_cmp_lt_i32_e32 vcc_lo, 0, v116
	v_ashrrev_i32_e32 v13, 31, v114
	v_sub_nc_u32_e32 v11, v115, v11
	s_mov_b32 s47, exec_lo
	v_cndmask_b32_e32 v10, 0, v66, vcc_lo
	v_lshrrev_b32_e32 v13, 23, v13
	v_cndmask_b32_e64 v11, 0, v11, s19
	v_sub_nc_u32_e32 v10, v10, v116
	v_add_nc_u32_e32 v13, v114, v13
	v_add_nc_u32_e32 v113, v11, v113
	v_lshl_add_u32 v10, v10, 5, v99
	v_and_b32_e32 v116, 0xfffffe00, v13
	v_ashrrev_i32_e32 v13, 9, v13
	v_ashrrev_i32_e32 v12, 31, v10
	v_sub_nc_u32_e32 v115, v114, v116
	v_lshrrev_b32_e32 v12, 27, v12
	v_cmp_lt_i32_e64 s19, 15, v115
	v_add_nc_u32_e32 v12, v10, v12
	v_add_co_ci_u32_e64 v13, null, 0, v13, s19
	v_and_b32_e32 v52, 0xffffffe0, v12
	v_ashrrev_i32_e32 v12, 5, v12
	v_sub_nc_u32_e32 v117, v10, v52
	v_sub_nc_u32_e32 v118, v13, v12
	v_lshlrev_b32_e32 v10, 4, v117
	v_lshl_add_u32 v10, v12, 9, v10
	v_sub_nc_u32_e32 v112, v114, v10
	v_cmpx_lt_i32_e32 15, v112
	s_cbranch_execz .LBB4_225
; %bb.220:                              ;   in Loop: Header=BB4_77 Depth=1
	v_add_nc_u32_e32 v10, v10, v113
	s_mov_b32 s56, 0
	v_ashrrev_i32_e32 v11, 31, v10
	v_add_co_u32 v52, vcc_lo, v10, v2
	v_add_co_ci_u32_e64 v53, null, v11, v3, vcc_lo
	v_add_co_u32 v119, vcc_lo, v10, v48
	v_add_co_ci_u32_e64 v40, null, v11, v49, vcc_lo
	;; [unrolled: 2-line block ×3, first 2 shown]
	s_inst_prefetch 0x1
	.p2align	6
.LBB4_221:                              ;   Parent Loop BB4_77 Depth=1
                                        ; =>  This Loop Header: Depth=2
                                        ;       Child Loop BB4_222 Depth 3
	global_load_dwordx4 v[10:13], v[52:53], off slc
	s_mov_b64 s[22:23], 0
	s_mov_b32 s57, -1
	.p2align	6
.LBB4_222:                              ;   Parent Loop BB4_77 Depth=1
                                        ;     Parent Loop BB4_221 Depth=2
                                        ; =>    This Inner Loop Header: Depth=3
	s_cmp_eq_u32 s22, 1
	s_cselect_b32 vcc_lo, -1, 0
	s_cmp_eq_u32 s22, 0
	v_cndmask_b32_e32 v43, v119, v41, vcc_lo
	v_cndmask_b32_e32 v44, v40, v42, vcc_lo
	s_mov_b64 s[22:23], 1
	v_add_co_u32 v45, s20, 0x200, v43
	v_add_co_ci_u32_e64 v46, null, 0, v44, s20
	s_cselect_b32 s20, -1, 0
	v_cndmask_b32_e32 v41, v41, v45, vcc_lo
	v_cndmask_b32_e64 v119, v119, v45, s20
	v_cndmask_b32_e32 v42, v42, v46, vcc_lo
	v_cndmask_b32_e64 v40, v40, v46, s20
	s_and_b32 s21, exec_lo, s57
	s_mov_b32 s57, 0
	s_mov_b32 vcc_lo, s21
	s_waitcnt vmcnt(0)
	global_store_dwordx4 v[43:44], v[10:13], off glc slc
	s_cbranch_vccnz .LBB4_222
; %bb.223:                              ;   in Loop: Header=BB4_221 Depth=2
	v_sub_nc_u32_e32 v112, v112, v81
	v_add_co_u32 v119, vcc_lo, v119, v85
	v_add_co_ci_u32_e64 v40, null, v40, v96, vcc_lo
	v_add_co_u32 v41, vcc_lo, v41, v85
	v_add_co_ci_u32_e64 v42, null, v42, v96, vcc_lo
	v_cmp_gt_i32_e32 vcc_lo, 16, v112
	v_add_co_u32 v52, s20, v101, v52
	v_add_co_ci_u32_e64 v53, null, v102, v53, s20
	v_sub_nc_u32_e32 v118, v118, v66
	s_or_b32 s56, vcc_lo, s56
	s_andn2_b32 exec_lo, exec_lo, s56
	s_cbranch_execnz .LBB4_221
; %bb.224:                              ;   in Loop: Header=BB4_77 Depth=1
	s_inst_prefetch 0x2
	s_or_b32 exec_lo, exec_lo, s56
.LBB4_225:                              ;   in Loop: Header=BB4_77 Depth=1
	s_or_b32 exec_lo, exec_lo, s47
	v_and_b32_e32 v11, 15, v114
	v_mov_b32_e32 v52, 0
	s_mov_b32 s20, 0
	s_mov_b32 s21, exec_lo
                                        ; implicit-def: $vgpr112
                                        ; implicit-def: $vgpr10
	v_cndmask_b32_e64 v53, v115, v11, s19
	v_cmpx_ne_u32_e32 0, v53
	s_cbranch_execz .LBB4_227
; %bb.226:                              ;   in Loop: Header=BB4_77 Depth=1
	v_cmp_lt_i32_e32 vcc_lo, 0, v118
	v_sub_nc_u32_e32 v11, v115, v11
	s_mov_b32 s20, exec_lo
	v_cndmask_b32_e32 v10, 0, v66, vcc_lo
	v_cndmask_b32_e64 v11, 0, v11, s19
	v_sub_nc_u32_e32 v10, v10, v118
	v_add3_u32 v52, v116, v113, v11
	v_lshl_add_u32 v112, v10, 5, v117
	v_ashrrev_i32_e32 v10, 31, v112
	v_lshrrev_b32_e32 v10, 27, v10
	v_add_nc_u32_e32 v10, v112, v10
	v_ashrrev_i32_e32 v10, 5, v10
.LBB4_227:                              ;   in Loop: Header=BB4_77 Depth=1
	s_or_b32 exec_lo, exec_lo, s21
	s_and_b32 s20, s20, exec_lo
.LBB4_228:                              ;   in Loop: Header=BB4_77 Depth=1
	s_or_b32 exec_lo, exec_lo, s46
.LBB4_229:                              ;   in Loop: Header=BB4_77 Depth=1
	s_and_saveexec_b32 s21, s20
	s_cbranch_execz .LBB4_240
; %bb.230:                              ;   in Loop: Header=BB4_77 Depth=1
	v_ashrrev_i32_e32 v11, 31, v53
	s_mov_b32 s20, exec_lo
	v_add_nc_u32_sdwa v11, v53, v11 dst_sel:DWORD dst_unused:UNUSED_PAD src0_sel:DWORD src1_sel:BYTE_3
	v_ashrrev_i32_e32 v115, 8, v11
	v_ashrrev_i32_e32 v11, 31, v112
	v_sub_nc_u32_e32 v113, v115, v10
	v_lshrrev_b32_e32 v114, 27, v11
	v_cmpx_lt_i32_e32 0, v113
	s_cbranch_execz .LBB4_234
; %bb.231:                              ;   in Loop: Header=BB4_77 Depth=1
	v_add_nc_u32_e32 v11, v112, v114
	v_lshlrev_b32_e32 v10, 8, v10
	v_add_co_u32 v118, vcc_lo, 0xe0, v2
	v_add_co_ci_u32_e64 v119, null, 0, v3, vcc_lo
	v_and_b32_e32 v11, 0xffffffe0, v11
	s_mov_b32 s22, 0
	v_sub_nc_u32_e32 v11, v112, v11
	v_add3_u32 v116, v52, v11, v10
	v_ashrrev_i32_e32 v117, 31, v116
	v_add_co_u32 v10, vcc_lo, v116, v48
	v_add_co_ci_u32_e64 v11, null, v117, v49, vcc_lo
	v_add_co_u32 v12, vcc_lo, v116, v50
	v_add_co_ci_u32_e64 v13, null, v117, v51, vcc_lo
	;; [unrolled: 2-line block ×3, first 2 shown]
.LBB4_232:                              ;   Parent Loop BB4_77 Depth=1
                                        ; =>  This Inner Loop Header: Depth=2
	v_add_co_u32 v116, vcc_lo, 0xffffff20, v50
	v_add_co_ci_u32_e64 v117, null, -1, v51, vcc_lo
	v_add_co_u32 v118, vcc_lo, 0xffffff40, v50
	v_add_co_ci_u32_e64 v119, null, -1, v51, vcc_lo
	;; [unrolled: 2-line block ×7, first 2 shown]
	flat_load_ubyte v58, v[50:51] slc
	flat_load_ubyte v116, v[116:117] slc
	;; [unrolled: 1-line block ×8, first 2 shown]
	v_sub_nc_u32_e32 v113, v113, v66
	v_add_co_u32 v50, vcc_lo, v50, v82
	v_add_co_ci_u32_e64 v51, null, 0, v51, vcc_lo
	v_cmp_gt_i32_e32 vcc_lo, 1, v113
	s_waitcnt vmcnt(7) lgkmcnt(7)
	flat_store_byte v[10:11], v58 offset:224 glc slc
	s_waitcnt vmcnt(6) lgkmcnt(7)
	flat_store_byte v[10:11], v116 glc slc
	s_waitcnt vmcnt(5) lgkmcnt(7)
	flat_store_byte v[10:11], v117 offset:32 glc slc
	s_waitcnt vmcnt(4) lgkmcnt(7)
	flat_store_byte v[10:11], v118 offset:64 glc slc
	;; [unrolled: 2-line block ×6, first 2 shown]
	flat_store_byte v[12:13], v116 glc slc
	flat_store_byte v[12:13], v117 offset:32 glc slc
	flat_store_byte v[12:13], v118 offset:64 glc slc
	;; [unrolled: 1-line block ×7, first 2 shown]
	v_add_co_u32 v10, s19, v10, v82
	v_add_co_ci_u32_e64 v11, null, 0, v11, s19
	v_add_co_u32 v12, s19, v12, v82
	v_add_co_ci_u32_e64 v13, null, 0, v13, s19
	s_or_b32 s22, vcc_lo, s22
	s_andn2_b32 exec_lo, exec_lo, s22
	s_cbranch_execnz .LBB4_232
; %bb.233:                              ;   in Loop: Header=BB4_77 Depth=1
	s_or_b32 exec_lo, exec_lo, s22
.LBB4_234:                              ;   in Loop: Header=BB4_77 Depth=1
	s_or_b32 exec_lo, exec_lo, s20
	v_lshlrev_b32_e32 v10, 8, v115
	v_cmp_ne_u32_e32 vcc_lo, v53, v10
	s_and_b32 exec_lo, exec_lo, vcc_lo
	s_cbranch_execz .LBB4_240
; %bb.235:                              ;   in Loop: Header=BB4_77 Depth=1
	v_add_nc_u32_e32 v11, v112, v114
	v_lshlrev_b32_e32 v12, 5, v113
	v_and_b32_e32 v11, 0xffffffe0, v11
	v_sub_nc_u32_e32 v11, v112, v11
	v_sub_nc_u32_e32 v11, v11, v12
	v_add_nc_u32_e32 v10, v10, v11
	v_sub_nc_u32_e32 v12, v53, v10
	v_cmp_lt_i32_e32 vcc_lo, 0, v12
	s_and_b32 exec_lo, exec_lo, vcc_lo
	s_cbranch_execz .LBB4_240
; %bb.236:                              ;   in Loop: Header=BB4_77 Depth=1
	s_trap 2
	ds_read_b64 v[50:51], v0
	ds_read_b128 v[112:115], v0
	v_add_nc_u32_e32 v52, v10, v52
	s_mov_b32 s46, 0
	v_ashrrev_i32_e32 v53, 31, v52
	s_waitcnt lgkmcnt(1)
	v_add_co_u32 v10, vcc_lo, v50, v52
	v_add_co_ci_u32_e64 v11, null, v51, v53, vcc_lo
	s_waitcnt lgkmcnt(0)
	v_add_co_u32 v13, vcc_lo, v112, v52
	v_add_co_ci_u32_e64 v50, null, v113, v53, vcc_lo
	v_add_co_u32 v51, vcc_lo, v114, v52
	v_add_co_ci_u32_e64 v52, null, v115, v53, vcc_lo
	s_inst_prefetch 0x1
	.p2align	6
.LBB4_237:                              ;   Parent Loop BB4_77 Depth=1
                                        ; =>  This Loop Header: Depth=2
                                        ;       Child Loop BB4_238 Depth 3
	flat_load_ubyte v53, v[10:11] slc
	s_mov_b64 s[22:23], 0
	s_mov_b32 s47, -1
	.p2align	6
.LBB4_238:                              ;   Parent Loop BB4_77 Depth=1
                                        ;     Parent Loop BB4_237 Depth=2
                                        ; =>    This Inner Loop Header: Depth=3
	s_cmp_eq_u32 s22, 1
	s_cselect_b32 vcc_lo, -1, 0
	s_cmp_eq_u32 s22, 0
	v_cndmask_b32_e32 v112, v13, v51, vcc_lo
	v_cndmask_b32_e32 v113, v50, v52, vcc_lo
	s_mov_b64 s[22:23], 1
	v_add_co_u32 v114, s19, v112, 32
	v_add_co_ci_u32_e64 v115, null, 0, v113, s19
	s_cselect_b32 s19, -1, 0
	v_cndmask_b32_e32 v51, v51, v114, vcc_lo
	v_cndmask_b32_e64 v13, v13, v114, s19
	v_cndmask_b32_e32 v52, v52, v115, vcc_lo
	v_cndmask_b32_e64 v50, v50, v115, s19
	s_and_b32 s20, exec_lo, s47
	s_mov_b32 s47, 0
	s_mov_b32 vcc_lo, s20
	s_waitcnt vmcnt(0) lgkmcnt(0)
	flat_store_byte v[112:113], v53 glc slc
	s_cbranch_vccnz .LBB4_238
; %bb.239:                              ;   in Loop: Header=BB4_237 Depth=2
	v_sub_nc_u32_e32 v12, v12, v69
	v_add_co_u32 v13, vcc_lo, v13, v83
	v_add_co_ci_u32_e64 v50, null, v50, v86, vcc_lo
	v_add_co_u32 v51, vcc_lo, v51, v83
	v_add_co_ci_u32_e64 v52, null, v52, v86, vcc_lo
	v_cmp_gt_i32_e32 vcc_lo, 1, v12
	v_add_co_u32 v10, s19, v97, v10
	v_add_co_ci_u32_e64 v11, null, v98, v11, s19
	s_or_b32 s46, vcc_lo, s46
	s_andn2_b32 exec_lo, exec_lo, s46
	s_cbranch_execnz .LBB4_237
.LBB4_240:                              ;   in Loop: Header=BB4_77 Depth=1
	s_inst_prefetch 0x2
	s_or_b32 exec_lo, exec_lo, s21
	s_mov_b32 s19, 0
.LBB4_241:                              ;   in Loop: Header=BB4_77 Depth=1
	s_and_b32 vcc_lo, exec_lo, s19
	s_cbranch_vccz .LBB4_270
; %bb.242:                              ;   in Loop: Header=BB4_77 Depth=1
	s_mov_b32 s19, -1
	s_and_saveexec_b32 s20, s13
	s_cbranch_execz .LBB4_244
; %bb.243:                              ;   in Loop: Header=BB4_77 Depth=1
	ds_read_b32 v10, v0 offset:720
	s_waitcnt lgkmcnt(0)
	v_and_b32_e32 v10, 15, v10
	v_cmp_eq_u32_e32 vcc_lo, 0, v10
	s_orn2_b32 s19, vcc_lo, exec_lo
.LBB4_244:                              ;   in Loop: Header=BB4_77 Depth=1
	s_or_b32 exec_lo, exec_lo, s20
	s_and_saveexec_b32 s20, s16
	s_cbranch_execz .LBB4_246
; %bb.245:                              ;   in Loop: Header=BB4_77 Depth=1
	ds_read_b32 v10, v0 offset:784
	s_waitcnt lgkmcnt(0)
	v_and_b32_e32 v10, 15, v10
	v_cmp_eq_u32_e32 vcc_lo, 0, v10
	s_and_b32 s21, s19, vcc_lo
	s_andn2_b32 s19, s19, exec_lo
	s_and_b32 s21, s21, exec_lo
	s_or_b32 s19, s19, s21
.LBB4_246:                              ;   in Loop: Header=BB4_77 Depth=1
	s_or_b32 exec_lo, exec_lo, s20
	s_xor_b32 s19, s19, -1
	v_mov_b32_e32 v10, 0
	v_cndmask_b32_e64 v11, 0, 1, s19
	v_mov_b32_e32 v12, v0
	v_mov_b32_e32 v112, v87
	s_mov_b32 s19, -1
	v_cmp_ne_u32_e32 vcc_lo, 0, v11
	v_mov_b32_e32 v11, v39
	s_cbranch_vccnz .LBB4_260
; %bb.247:                              ;   in Loop: Header=BB4_77 Depth=1
	v_ashrrev_i32_e32 v10, 31, v39
	s_mov_b32 s20, exec_lo
	v_lshrrev_b32_e32 v10, 22, v10
	v_add_nc_u32_e32 v10, v39, v10
	v_ashrrev_i32_e32 v12, 10, v10
	v_sub_nc_u32_e32 v50, v12, v87
	v_cmpx_lt_i32_e32 0, v50
	s_cbranch_execz .LBB4_251
; %bb.248:                              ;   in Loop: Header=BB4_77 Depth=1
	v_mov_b32_e32 v10, v36
	v_mov_b32_e32 v11, v37
	s_mov_b32 s21, 0
	.p2align	6
.LBB4_249:                              ;   Parent Loop BB4_77 Depth=1
                                        ; =>  This Inner Loop Header: Depth=2
	v_add_co_u32 v51, vcc_lo, v2, v10
	v_add_co_ci_u32_e64 v52, null, v3, v11, vcc_lo
	v_sub_nc_u32_e32 v50, v50, v66
	s_clause 0x1
	global_load_dwordx4 v[112:115], v[51:52], off slc
	global_load_dwordx4 v[116:119], v[51:52], off offset:512 slc
	v_add_co_u32 v51, vcc_lo, v48, v10
	v_add_co_ci_u32_e64 v52, null, v49, v11, vcc_lo
	v_cmp_gt_i32_e32 vcc_lo, 1, v50
	v_add_co_u32 v10, s19, v10, v84
	v_add_co_ci_u32_e64 v11, null, 0, v11, s19
	s_or_b32 s21, vcc_lo, s21
	s_waitcnt vmcnt(1)
	global_store_dwordx4 v[51:52], v[112:115], off glc slc
	s_waitcnt vmcnt(0)
	global_store_dwordx4 v[51:52], v[116:119], off offset:512 glc slc
	s_andn2_b32 exec_lo, exec_lo, s21
	s_cbranch_execnz .LBB4_249
; %bb.250:                              ;   in Loop: Header=BB4_77 Depth=1
	s_or_b32 exec_lo, exec_lo, s21
.LBB4_251:                              ;   in Loop: Header=BB4_77 Depth=1
	s_or_b32 exec_lo, exec_lo, s20
	v_lshlrev_b32_e32 v13, 10, v12
	v_mov_b32_e32 v10, 0
	s_mov_b32 s19, 0
	s_mov_b32 s21, exec_lo
                                        ; implicit-def: $vgpr11
                                        ; implicit-def: $vgpr12
                                        ; implicit-def: $vgpr112
	v_cmpx_ne_u32_e64 v39, v13
	s_cbranch_execz .LBB4_259
; %bb.252:                              ;   in Loop: Header=BB4_77 Depth=1
	v_lshlrev_b32_e32 v10, 5, v50
	v_sub_nc_u32_e32 v12, v39, v13
	s_mov_b32 s22, exec_lo
	v_sub_nc_u32_e32 v10, v99, v10
	v_ashrrev_i32_e32 v50, 31, v12
	v_ashrrev_i32_e32 v11, 31, v10
	v_lshrrev_b32_e32 v50, 23, v50
	v_lshrrev_b32_e32 v11, 27, v11
	v_add_nc_u32_e32 v53, v12, v50
	v_add_nc_u32_e32 v11, v10, v11
	v_and_b32_e32 v50, 0xfffffe00, v53
	v_ashrrev_i32_e32 v53, 9, v53
	v_and_b32_e32 v51, 0xffffffe0, v11
	v_sub_nc_u32_e32 v52, v12, v50
	v_ashrrev_i32_e32 v112, 5, v11
	v_sub_nc_u32_e32 v51, v10, v51
	v_cmp_lt_i32_e32 vcc_lo, 15, v52
	v_lshlrev_b32_e32 v10, 4, v51
	v_add_co_ci_u32_e64 v53, null, 0, v53, vcc_lo
	v_lshl_add_u32 v11, v112, 9, v10
	v_sub_nc_u32_e32 v53, v53, v112
	v_sub_nc_u32_e32 v10, v12, v11
	v_cmpx_lt_i32_e32 15, v10
	s_cbranch_execz .LBB4_256
; %bb.253:                              ;   in Loop: Header=BB4_77 Depth=1
	v_add_nc_u32_e32 v11, v11, v13
	s_mov_b32 s23, 0
	v_ashrrev_i32_e32 v12, 31, v11
	.p2align	6
.LBB4_254:                              ;   Parent Loop BB4_77 Depth=1
                                        ; =>  This Inner Loop Header: Depth=2
	v_add_co_u32 v112, s19, v2, v11
	v_add_co_ci_u32_e64 v113, null, v3, v12, s19
	v_sub_nc_u32_e32 v10, v10, v81
	v_add_co_u32 v116, s19, v48, v11
	global_load_dwordx4 v[112:115], v[112:113], off slc
	v_add_co_ci_u32_e64 v117, null, v49, v12, s19
	v_cmp_gt_i32_e64 s19, 16, v10
	v_add_co_u32 v11, s20, v11, v101
	v_sub_nc_u32_e32 v53, v53, v66
	v_add_co_ci_u32_e64 v12, null, v12, v102, s20
	s_or_b32 s23, s19, s23
	s_waitcnt vmcnt(0)
	global_store_dwordx4 v[116:117], v[112:115], off glc slc
	s_andn2_b32 exec_lo, exec_lo, s23
	s_cbranch_execnz .LBB4_254
; %bb.255:                              ;   in Loop: Header=BB4_77 Depth=1
	s_or_b32 exec_lo, exec_lo, s23
.LBB4_256:                              ;   in Loop: Header=BB4_77 Depth=1
	s_or_b32 exec_lo, exec_lo, s22
	v_and_b32_e32 v113, 15, v39
	v_mov_b32_e32 v10, 0
	s_mov_b32 s20, 0
	s_mov_b32 s22, exec_lo
                                        ; implicit-def: $vgpr12
                                        ; implicit-def: $vgpr112
	v_cndmask_b32_e32 v11, v52, v113, vcc_lo
	v_cmpx_ne_u32_e32 0, v11
	s_cbranch_execz .LBB4_258
; %bb.257:                              ;   in Loop: Header=BB4_77 Depth=1
	v_cmp_lt_i32_e64 s19, 0, v53
	s_mov_b32 s20, exec_lo
	v_cndmask_b32_e64 v10, 0, v66, s19
	v_sub_nc_u32_e32 v10, v10, v53
	v_lshl_add_u32 v12, v10, 5, v51
	v_sub_nc_u32_e32 v51, v52, v113
	v_ashrrev_i32_e32 v10, 31, v12
	v_cndmask_b32_e32 v51, 0, v51, vcc_lo
	v_lshrrev_b32_e32 v10, 27, v10
	v_add_nc_u32_e32 v52, v12, v10
	v_add3_u32 v10, v50, v13, v51
	v_ashrrev_i32_e32 v112, 5, v52
.LBB4_258:                              ;   in Loop: Header=BB4_77 Depth=1
	s_or_b32 exec_lo, exec_lo, s22
	s_and_b32 s19, s20, exec_lo
.LBB4_259:                              ;   in Loop: Header=BB4_77 Depth=1
	s_or_b32 exec_lo, exec_lo, s21
.LBB4_260:                              ;   in Loop: Header=BB4_77 Depth=1
	s_and_saveexec_b32 s20, s19
	s_cbranch_execz .LBB4_269
; %bb.261:                              ;   in Loop: Header=BB4_77 Depth=1
	v_ashrrev_i32_e32 v13, 31, v11
	v_ashrrev_i32_e32 v50, 31, v12
	s_mov_b32 s19, exec_lo
	v_add_nc_u32_sdwa v13, v11, v13 dst_sel:DWORD dst_unused:UNUSED_PAD src0_sel:DWORD src1_sel:BYTE_3
	v_lshrrev_b32_e32 v50, 27, v50
	v_ashrrev_i32_e32 v51, 8, v13
	v_sub_nc_u32_e32 v13, v51, v112
	v_cmpx_lt_i32_e32 0, v13
	s_cbranch_execz .LBB4_265
; %bb.262:                              ;   in Loop: Header=BB4_77 Depth=1
	v_add_nc_u32_e32 v52, v12, v50
	v_lshlrev_b32_e32 v53, 8, v112
	s_mov_b32 s21, 0
	v_and_b32_e32 v52, 0xffffffe0, v52
	v_sub_nc_u32_e32 v52, v12, v52
	v_add3_u32 v52, v10, v52, v53
	v_ashrrev_i32_e32 v53, 31, v52
.LBB4_263:                              ;   Parent Loop BB4_77 Depth=1
                                        ; =>  This Inner Loop Header: Depth=2
	v_add_co_u32 v112, vcc_lo, v52, v2
	v_add_co_ci_u32_e64 v113, null, v53, v3, vcc_lo
	v_sub_nc_u32_e32 v13, v13, v66
	s_clause 0x7
	flat_load_ubyte v114, v[112:113] slc
	flat_load_ubyte v115, v[112:113] offset:32 slc
	flat_load_ubyte v116, v[112:113] offset:64 slc
	;; [unrolled: 1-line block ×7, first 2 shown]
	v_add_co_u32 v112, vcc_lo, v52, v48
	v_add_co_ci_u32_e64 v113, null, v53, v49, vcc_lo
	v_add_co_u32 v2, vcc_lo, v2, v82
	v_add_co_ci_u32_e64 v3, null, 0, v3, vcc_lo
	v_add_co_u32 v48, vcc_lo, v48, v82
	v_add_co_ci_u32_e64 v49, null, 0, v49, vcc_lo
	v_cmp_gt_i32_e32 vcc_lo, 1, v13
	s_waitcnt vmcnt(7) lgkmcnt(7)
	flat_store_byte v[112:113], v114 glc slc
	s_waitcnt vmcnt(6) lgkmcnt(7)
	flat_store_byte v[112:113], v115 offset:32 glc slc
	s_waitcnt vmcnt(5) lgkmcnt(7)
	flat_store_byte v[112:113], v116 offset:64 glc slc
	;; [unrolled: 2-line block ×7, first 2 shown]
	s_or_b32 s21, vcc_lo, s21
	s_andn2_b32 exec_lo, exec_lo, s21
	s_cbranch_execnz .LBB4_263
; %bb.264:                              ;   in Loop: Header=BB4_77 Depth=1
	s_or_b32 exec_lo, exec_lo, s21
.LBB4_265:                              ;   in Loop: Header=BB4_77 Depth=1
	s_or_b32 exec_lo, exec_lo, s19
	v_lshlrev_b32_e32 v2, 8, v51
	v_cmp_ne_u32_e32 vcc_lo, v11, v2
	s_and_b32 exec_lo, exec_lo, vcc_lo
	s_cbranch_execz .LBB4_269
; %bb.266:                              ;   in Loop: Header=BB4_77 Depth=1
	v_add_nc_u32_e32 v3, v12, v50
	v_and_b32_e32 v3, 0xffffffe0, v3
	v_sub_nc_u32_e32 v3, v12, v3
	v_lshlrev_b32_e32 v12, 5, v13
	v_sub_nc_u32_e32 v3, v3, v12
	v_add_nc_u32_e32 v12, v2, v3
	v_sub_nc_u32_e32 v11, v11, v12
	v_cmp_lt_i32_e32 vcc_lo, 0, v11
	s_and_b32 exec_lo, exec_lo, vcc_lo
	s_cbranch_execz .LBB4_269
; %bb.267:                              ;   in Loop: Header=BB4_77 Depth=1
	s_trap 2
	ds_read_b64 v[2:3], v0
	v_add_nc_u32_e32 v10, v12, v10
	s_mov_b32 s21, 0
	v_ashrrev_i32_e32 v12, 31, v10
	.p2align	6
.LBB4_268:                              ;   Parent Loop BB4_77 Depth=1
                                        ; =>  This Inner Loop Header: Depth=2
	s_waitcnt lgkmcnt(0)
	v_add_co_u32 v48, vcc_lo, v2, v10
	v_add_co_ci_u32_e64 v49, null, v3, v12, vcc_lo
	v_sub_nc_u32_e32 v11, v11, v69
	v_add_co_u32 v10, s19, v10, v97
	flat_load_ubyte v13, v[48:49] slc
	v_add_co_ci_u32_e64 v12, null, v12, v98, s19
	v_cmp_gt_i32_e32 vcc_lo, 1, v11
	s_or_b32 s21, vcc_lo, s21
	s_waitcnt vmcnt(0) lgkmcnt(0)
	flat_store_byte v[48:49], v13 glc slc
	s_andn2_b32 exec_lo, exec_lo, s21
	s_cbranch_execnz .LBB4_268
.LBB4_269:                              ;   in Loop: Header=BB4_77 Depth=1
	s_or_b32 exec_lo, exec_lo, s20
.LBB4_270:                              ;   in Loop: Header=BB4_77 Depth=1
	v_cmp_lt_i32_e64 s19, 0, v39
	s_and_saveexec_b32 s20, s7
	s_cbranch_execnz .LBB4_272
	s_branch .LBB4_376
.LBB4_271:                              ;   in Loop: Header=BB4_77 Depth=1
	s_mov_b32 s19, 0
	s_and_saveexec_b32 s20, s7
	s_cbranch_execz .LBB4_376
.LBB4_272:                              ;   in Loop: Header=BB4_77 Depth=1
	s_and_saveexec_b32 s21, s27
	s_xor_b32 s21, exec_lo, s21
	s_cbranch_execz .LBB4_373
; %bb.273:                              ;   in Loop: Header=BB4_77 Depth=1
	s_and_saveexec_b32 s22, s12
	s_cbranch_execz .LBB4_372
; %bb.274:                              ;   in Loop: Header=BB4_77 Depth=1
	s_mov_b32 s46, exec_lo
	s_mov_b32 s23, exec_lo
	v_mbcnt_lo_u32_b32 v2, s46, 0
	s_waitcnt vmcnt(0) lgkmcnt(0)
	s_waitcnt_vscnt null, 0x0
	buffer_gl1_inv
	buffer_gl0_inv
	v_cmpx_eq_u32_e32 0, v2
	s_cbranch_execz .LBB4_276
; %bb.275:                              ;   in Loop: Header=BB4_77 Depth=1
	s_bcnt1_i32_b32 s46, s46
	v_mov_b32_e32 v3, v1
	v_mov_b32_e32 v2, s46
	ds_add_u64 v0, v[2:3]
	s_trap 2
.LBB4_276:                              ;   in Loop: Header=BB4_77 Depth=1
	s_or_b32 exec_lo, exec_lo, s23
	s_trap 2
	ds_read_b64 v[2:3], v0
	s_waitcnt lgkmcnt(0)
	buffer_gl0_inv
	v_add_co_u32 v24, vcc_lo, v24, v66
	v_add_co_ci_u32_e64 v25, null, 0, v25, vcc_lo
	s_mov_b32 s23, exec_lo
	v_cmpx_lt_u64_e64 v[2:3], v[24:25]
	s_cbranch_execz .LBB4_371
; %bb.277:                              ;   in Loop: Header=BB4_77 Depth=1
	s_mov_b32 s46, 0
	s_mov_b32 s57, 0
                                        ; implicit-def: $sgpr47
                                        ; implicit-def: $sgpr56
	s_inst_prefetch 0x1
	s_branch .LBB4_279
	.p2align	6
.LBB4_278:                              ;   in Loop: Header=BB4_279 Depth=2
	s_or_b32 exec_lo, exec_lo, s59
	s_and_b32 s58, exec_lo, s60
	s_or_b32 s46, s58, s46
	s_andn2_b32 s47, s47, exec_lo
	s_and_b32 s58, s56, exec_lo
	s_or_b32 s47, s47, s58
	s_andn2_b32 exec_lo, exec_lo, s46
	s_cbranch_execz .LBB4_369
.LBB4_279:                              ;   Parent Loop BB4_77 Depth=1
                                        ; =>  This Inner Loop Header: Depth=2
	s_add_i32 s57, s57, 1
	s_cmpk_lg_i32 s57, 0x2710
	s_cselect_b32 s58, -1, 0
	s_and_b32 vcc_lo, exec_lo, s58
	s_cbranch_vccz .LBB4_281
; %bb.280:                              ;   in Loop: Header=BB4_279 Depth=2
	s_mov_b32 s60, -1
	s_or_b32 s56, s56, exec_lo
	s_and_saveexec_b32 s59, s58
	s_cbranch_execz .LBB4_278
	s_branch .LBB4_282
	.p2align	6
.LBB4_281:                              ;   in Loop: Header=BB4_279 Depth=2
	s_trap 2
	ds_read_b64 v[2:3], v0
	s_andn2_b32 s58, s58, exec_lo
	s_mov_b32 s57, 0
	s_waitcnt lgkmcnt(0)
	flat_load_dword v2, v[2:3] glc dlc
	s_waitcnt vmcnt(0) lgkmcnt(0)
	buffer_gl1_inv
	buffer_gl0_inv
	v_cmp_eq_u32_e32 vcc_lo, 0, v2
	s_and_b32 s59, vcc_lo, exec_lo
	s_or_b32 s58, s58, s59
	s_mov_b32 s60, -1
	s_or_b32 s56, s56, exec_lo
	s_and_saveexec_b32 s59, s58
	s_cbranch_execz .LBB4_278
.LBB4_282:                              ;   in Loop: Header=BB4_279 Depth=2
	s_sleep 1
	s_trap 2
	ds_read_b64 v[2:3], v0
	s_waitcnt lgkmcnt(0)
	buffer_gl0_inv
	s_andn2_b32 s56, s56, exec_lo
	v_cmp_ge_u64_e32 vcc_lo, v[2:3], v[24:25]
	s_orn2_b32 s60, vcc_lo, exec_lo
	s_branch .LBB4_278
.LBB4_283:                              ;   in Loop: Header=BB4_77 Depth=1
	s_inst_prefetch 0x2
	s_or_b32 exec_lo, exec_lo, s23
	s_and_saveexec_b32 s23, s47
	s_xor_b32 s23, exec_lo, s23
	s_cbranch_execz .LBB4_285
; %bb.284:                              ;   in Loop: Header=BB4_77 Depth=1
	ds_write_b32 v0, v70
	s_trap 2
.LBB4_285:                              ;   in Loop: Header=BB4_77 Depth=1
	s_or_b32 exec_lo, exec_lo, s22
	;;#ASMSTART
	s_wakeup
	;;#ASMEND
.LBB4_286:                              ;   in Loop: Header=BB4_77 Depth=1
	s_or_b32 exec_lo, exec_lo, s21
.LBB4_287:                              ;   in Loop: Header=BB4_77 Depth=1
	s_andn2_saveexec_b32 s20, s20
	s_cbranch_execz .LBB4_289
; %bb.288:                              ;   in Loop: Header=BB4_77 Depth=1
	s_waitcnt vmcnt(0) lgkmcnt(0)
	s_waitcnt_vscnt null, 0x0
	buffer_gl1_inv
	buffer_gl0_inv
	s_barrier
.LBB4_289:                              ;   in Loop: Header=BB4_77 Depth=1
	s_or_b32 exec_lo, exec_lo, s20
.LBB4_290:                              ;   in Loop: Header=BB4_77 Depth=1
	s_or_b32 exec_lo, exec_lo, s19
	s_trap 2
	ds_read_b64 v[2:3], v0
	s_waitcnt lgkmcnt(0)
	v_cmp_eq_u64_e32 vcc_lo, 0, v[2:3]
	s_cbranch_vccnz .LBB4_357
; %bb.291:                              ;   in Loop: Header=BB4_77 Depth=1
	s_trap 2
	ds_read_b64 v[48:49], v0
	s_waitcnt lgkmcnt(0)
	v_cmp_eq_u64_e32 vcc_lo, 0, v[48:49]
	s_cbranch_vccnz .LBB4_357
; %bb.292:                              ;   in Loop: Header=BB4_77 Depth=1
	s_trap 2
	ds_read_b64 v[50:51], v0
	v_cmp_eq_u32_e64 s19, 0, v10
	v_cndmask_b32_e64 v39, 0, v38, s19
	s_mov_b32 s19, -1
	s_waitcnt lgkmcnt(0)
	v_cmp_ne_u64_e32 vcc_lo, 0, v[50:51]
	s_cbranch_vccz .LBB4_327
; %bb.293:                              ;   in Loop: Header=BB4_77 Depth=1
	s_and_saveexec_b32 s20, s16
	s_cbranch_execz .LBB4_295
; %bb.294:                              ;   in Loop: Header=BB4_77 Depth=1
	ds_read_b32 v10, v0 offset:720
	s_waitcnt lgkmcnt(0)
	v_and_b32_e32 v10, 15, v10
	v_cmp_eq_u32_e32 vcc_lo, 0, v10
	s_orn2_b32 s19, vcc_lo, exec_lo
.LBB4_295:                              ;   in Loop: Header=BB4_77 Depth=1
	s_or_b32 exec_lo, exec_lo, s20
	s_and_saveexec_b32 s20, s15
	s_cbranch_execz .LBB4_297
; %bb.296:                              ;   in Loop: Header=BB4_77 Depth=1
	ds_read_b32 v10, v0 offset:784
	s_waitcnt lgkmcnt(0)
	v_and_b32_e32 v10, 15, v10
	v_cmp_eq_u32_e32 vcc_lo, 0, v10
	s_and_b32 s21, s19, vcc_lo
	s_andn2_b32 s19, s19, exec_lo
	s_and_b32 s21, s21, exec_lo
	s_or_b32 s19, s19, s21
.LBB4_297:                              ;   in Loop: Header=BB4_77 Depth=1
	s_or_b32 exec_lo, exec_lo, s20
	s_xor_b32 s19, s19, -1
	v_mov_b32_e32 v52, 0
	v_cndmask_b32_e64 v10, 0, 1, s19
	v_mov_b32_e32 v53, v39
	v_mov_b32_e32 v112, v0
	s_mov_b32 s20, -1
	v_cmp_ne_u32_e32 vcc_lo, 0, v10
	v_mov_b32_e32 v10, v87
	s_cbranch_vccnz .LBB4_315
; %bb.298:                              ;   in Loop: Header=BB4_77 Depth=1
	v_ashrrev_i32_e32 v10, 31, v39
	v_sub_nc_u32_e32 v112, v39, v67
	s_mov_b32 s47, exec_lo
	v_lshrrev_b32_e32 v10, 23, v10
	v_add_nc_u32_e32 v10, v39, v10
	v_and_b32_e32 v113, 0xfffffe00, v10
	v_ashrrev_i32_e32 v10, 9, v10
	v_sub_nc_u32_e32 v115, v39, v113
	v_cmp_lt_i32_e64 s19, 15, v115
	v_add_co_ci_u32_e64 v116, null, v10, v100, s19
	v_cmpx_lt_i32_e32 15, v112
	s_cbranch_execz .LBB4_304
; %bb.299:                              ;   in Loop: Header=BB4_77 Depth=1
	v_add_co_u32 v52, vcc_lo, v2, v67
	v_add_co_ci_u32_e64 v53, null, v3, v80, vcc_lo
	v_add_co_u32 v114, vcc_lo, v48, v67
	v_add_co_ci_u32_e64 v117, null, v49, v80, vcc_lo
	;; [unrolled: 2-line block ×3, first 2 shown]
	s_mov_b32 s56, 0
	s_inst_prefetch 0x1
	.p2align	6
.LBB4_300:                              ;   Parent Loop BB4_77 Depth=1
                                        ; =>  This Loop Header: Depth=2
                                        ;       Child Loop BB4_301 Depth 3
	global_load_dwordx4 v[10:13], v[52:53], off slc
	s_mov_b64 s[22:23], 0
	s_mov_b32 s57, -1
	.p2align	6
.LBB4_301:                              ;   Parent Loop BB4_77 Depth=1
                                        ;     Parent Loop BB4_300 Depth=2
                                        ; =>    This Inner Loop Header: Depth=3
	s_cmp_eq_u32 s22, 1
	s_cselect_b32 vcc_lo, -1, 0
	s_cmp_eq_u32 s22, 0
	v_cndmask_b32_e32 v40, v114, v118, vcc_lo
	v_cndmask_b32_e32 v41, v117, v119, vcc_lo
	s_mov_b64 s[22:23], 1
	v_add_co_u32 v42, s20, 0x200, v40
	v_add_co_ci_u32_e64 v43, null, 0, v41, s20
	s_cselect_b32 s20, -1, 0
	v_cndmask_b32_e32 v118, v118, v42, vcc_lo
	v_cndmask_b32_e64 v114, v114, v42, s20
	v_cndmask_b32_e32 v119, v119, v43, vcc_lo
	v_cndmask_b32_e64 v117, v117, v43, s20
	s_and_b32 s21, exec_lo, s57
	s_mov_b32 s57, 0
	s_mov_b32 vcc_lo, s21
	s_waitcnt vmcnt(0)
	global_store_dwordx4 v[40:41], v[10:13], off glc slc
	s_cbranch_vccnz .LBB4_301
; %bb.302:                              ;   in Loop: Header=BB4_300 Depth=2
	v_sub_nc_u32_e32 v112, v112, v81
	v_add_co_u32 v114, vcc_lo, v114, v85
	v_add_co_ci_u32_e64 v117, null, v117, v96, vcc_lo
	v_add_co_u32 v118, vcc_lo, v118, v85
	v_add_co_ci_u32_e64 v119, null, v119, v96, vcc_lo
	v_cmp_gt_i32_e32 vcc_lo, 16, v112
	v_add_co_u32 v52, s20, v101, v52
	v_add_co_ci_u32_e64 v53, null, v102, v53, s20
	v_sub_nc_u32_e32 v116, v116, v66
	s_or_b32 s56, vcc_lo, s56
	s_andn2_b32 exec_lo, exec_lo, s56
	s_cbranch_execnz .LBB4_300
; %bb.303:                              ;   in Loop: Header=BB4_77 Depth=1
	s_inst_prefetch 0x2
	s_or_b32 exec_lo, exec_lo, s56
.LBB4_304:                              ;   in Loop: Header=BB4_77 Depth=1
	s_or_b32 exec_lo, exec_lo, s47
	v_and_b32_e32 v11, 15, v39
	v_mov_b32_e32 v52, 0
	s_mov_b32 s20, 0
	s_mov_b32 s47, exec_lo
                                        ; implicit-def: $vgpr53
                                        ; implicit-def: $vgpr112
                                        ; implicit-def: $vgpr10
	v_cndmask_b32_e64 v114, v115, v11, s19
	v_cmpx_ne_u32_e32 0, v114
	s_cbranch_execz .LBB4_314
; %bb.305:                              ;   in Loop: Header=BB4_77 Depth=1
	v_cmp_lt_i32_e32 vcc_lo, 0, v116
	v_ashrrev_i32_e32 v13, 31, v114
	v_sub_nc_u32_e32 v11, v115, v11
	s_mov_b32 s56, exec_lo
	v_cndmask_b32_e32 v10, 0, v66, vcc_lo
	v_lshrrev_b32_e32 v13, 23, v13
	v_cndmask_b32_e64 v11, 0, v11, s19
	v_sub_nc_u32_e32 v10, v10, v116
	v_add_nc_u32_e32 v13, v114, v13
	v_add_nc_u32_e32 v113, v11, v113
	v_lshl_add_u32 v10, v10, 5, v99
	v_and_b32_e32 v116, 0xfffffe00, v13
	v_ashrrev_i32_e32 v13, 9, v13
	v_ashrrev_i32_e32 v12, 31, v10
	v_sub_nc_u32_e32 v115, v114, v116
	v_lshrrev_b32_e32 v12, 27, v12
	v_cmp_lt_i32_e64 s19, 15, v115
	v_add_nc_u32_e32 v12, v10, v12
	v_add_co_ci_u32_e64 v13, null, 0, v13, s19
	v_and_b32_e32 v52, 0xffffffe0, v12
	v_ashrrev_i32_e32 v12, 5, v12
	v_sub_nc_u32_e32 v117, v10, v52
	v_sub_nc_u32_e32 v118, v13, v12
	v_lshlrev_b32_e32 v10, 4, v117
	v_lshl_add_u32 v10, v12, 9, v10
	v_sub_nc_u32_e32 v112, v114, v10
	v_cmpx_lt_i32_e32 15, v112
	s_cbranch_execz .LBB4_311
; %bb.306:                              ;   in Loop: Header=BB4_77 Depth=1
	v_add_nc_u32_e32 v10, v10, v113
	s_mov_b32 s57, 0
	v_ashrrev_i32_e32 v11, 31, v10
	v_add_co_u32 v52, vcc_lo, v10, v2
	v_add_co_ci_u32_e64 v53, null, v11, v3, vcc_lo
	v_add_co_u32 v119, vcc_lo, v10, v48
	v_add_co_ci_u32_e64 v40, null, v11, v49, vcc_lo
	;; [unrolled: 2-line block ×3, first 2 shown]
	s_inst_prefetch 0x1
	.p2align	6
.LBB4_307:                              ;   Parent Loop BB4_77 Depth=1
                                        ; =>  This Loop Header: Depth=2
                                        ;       Child Loop BB4_308 Depth 3
	global_load_dwordx4 v[10:13], v[52:53], off slc
	s_mov_b64 s[22:23], 0
	s_mov_b32 s58, -1
	.p2align	6
.LBB4_308:                              ;   Parent Loop BB4_77 Depth=1
                                        ;     Parent Loop BB4_307 Depth=2
                                        ; =>    This Inner Loop Header: Depth=3
	s_cmp_eq_u32 s22, 1
	s_cselect_b32 vcc_lo, -1, 0
	s_cmp_eq_u32 s22, 0
	v_cndmask_b32_e32 v43, v119, v41, vcc_lo
	v_cndmask_b32_e32 v44, v40, v42, vcc_lo
	s_mov_b64 s[22:23], 1
	v_add_co_u32 v45, s20, 0x200, v43
	v_add_co_ci_u32_e64 v46, null, 0, v44, s20
	s_cselect_b32 s20, -1, 0
	v_cndmask_b32_e32 v41, v41, v45, vcc_lo
	v_cndmask_b32_e64 v119, v119, v45, s20
	v_cndmask_b32_e32 v42, v42, v46, vcc_lo
	v_cndmask_b32_e64 v40, v40, v46, s20
	s_and_b32 s21, exec_lo, s58
	s_mov_b32 s58, 0
	s_mov_b32 vcc_lo, s21
	s_waitcnt vmcnt(0)
	global_store_dwordx4 v[43:44], v[10:13], off glc slc
	s_cbranch_vccnz .LBB4_308
; %bb.309:                              ;   in Loop: Header=BB4_307 Depth=2
	v_sub_nc_u32_e32 v112, v112, v81
	v_add_co_u32 v119, vcc_lo, v119, v85
	v_add_co_ci_u32_e64 v40, null, v40, v96, vcc_lo
	v_add_co_u32 v41, vcc_lo, v41, v85
	v_add_co_ci_u32_e64 v42, null, v42, v96, vcc_lo
	v_cmp_gt_i32_e32 vcc_lo, 16, v112
	v_add_co_u32 v52, s20, v101, v52
	v_add_co_ci_u32_e64 v53, null, v102, v53, s20
	v_sub_nc_u32_e32 v118, v118, v66
	s_or_b32 s57, vcc_lo, s57
	s_andn2_b32 exec_lo, exec_lo, s57
	s_cbranch_execnz .LBB4_307
; %bb.310:                              ;   in Loop: Header=BB4_77 Depth=1
	s_inst_prefetch 0x2
	s_or_b32 exec_lo, exec_lo, s57
.LBB4_311:                              ;   in Loop: Header=BB4_77 Depth=1
	s_or_b32 exec_lo, exec_lo, s56
	v_and_b32_e32 v11, 15, v114
	v_mov_b32_e32 v52, 0
	s_mov_b32 s20, 0
	s_mov_b32 s21, exec_lo
                                        ; implicit-def: $vgpr112
                                        ; implicit-def: $vgpr10
	v_cndmask_b32_e64 v53, v115, v11, s19
	v_cmpx_ne_u32_e32 0, v53
	s_cbranch_execz .LBB4_313
; %bb.312:                              ;   in Loop: Header=BB4_77 Depth=1
	v_cmp_lt_i32_e32 vcc_lo, 0, v118
	v_sub_nc_u32_e32 v11, v115, v11
	s_mov_b32 s20, exec_lo
	v_cndmask_b32_e32 v10, 0, v66, vcc_lo
	v_cndmask_b32_e64 v11, 0, v11, s19
	v_sub_nc_u32_e32 v10, v10, v118
	v_add3_u32 v52, v116, v113, v11
	v_lshl_add_u32 v112, v10, 5, v117
	v_ashrrev_i32_e32 v10, 31, v112
	v_lshrrev_b32_e32 v10, 27, v10
	v_add_nc_u32_e32 v10, v112, v10
	v_ashrrev_i32_e32 v10, 5, v10
.LBB4_313:                              ;   in Loop: Header=BB4_77 Depth=1
	s_or_b32 exec_lo, exec_lo, s21
	s_and_b32 s20, s20, exec_lo
.LBB4_314:                              ;   in Loop: Header=BB4_77 Depth=1
	s_or_b32 exec_lo, exec_lo, s47
.LBB4_315:                              ;   in Loop: Header=BB4_77 Depth=1
	s_and_saveexec_b32 s21, s20
	s_cbranch_execz .LBB4_326
; %bb.316:                              ;   in Loop: Header=BB4_77 Depth=1
	v_ashrrev_i32_e32 v11, 31, v53
	s_mov_b32 s20, exec_lo
	v_add_nc_u32_sdwa v11, v53, v11 dst_sel:DWORD dst_unused:UNUSED_PAD src0_sel:DWORD src1_sel:BYTE_3
	v_ashrrev_i32_e32 v115, 8, v11
	v_ashrrev_i32_e32 v11, 31, v112
	v_sub_nc_u32_e32 v113, v115, v10
	v_lshrrev_b32_e32 v114, 27, v11
	v_cmpx_lt_i32_e32 0, v113
	s_cbranch_execz .LBB4_320
; %bb.317:                              ;   in Loop: Header=BB4_77 Depth=1
	v_add_nc_u32_e32 v11, v112, v114
	v_lshlrev_b32_e32 v10, 8, v10
	v_add_co_u32 v118, vcc_lo, 0xe0, v2
	v_add_co_ci_u32_e64 v119, null, 0, v3, vcc_lo
	v_and_b32_e32 v11, 0xffffffe0, v11
	s_mov_b32 s22, 0
	v_sub_nc_u32_e32 v11, v112, v11
	v_add3_u32 v116, v52, v11, v10
	v_ashrrev_i32_e32 v117, 31, v116
	v_add_co_u32 v10, vcc_lo, v116, v48
	v_add_co_ci_u32_e64 v11, null, v117, v49, vcc_lo
	v_add_co_u32 v12, vcc_lo, v116, v50
	v_add_co_ci_u32_e64 v13, null, v117, v51, vcc_lo
	;; [unrolled: 2-line block ×3, first 2 shown]
.LBB4_318:                              ;   Parent Loop BB4_77 Depth=1
                                        ; =>  This Inner Loop Header: Depth=2
	v_add_co_u32 v116, vcc_lo, 0xffffff20, v50
	v_add_co_ci_u32_e64 v117, null, -1, v51, vcc_lo
	v_add_co_u32 v118, vcc_lo, 0xffffff40, v50
	v_add_co_ci_u32_e64 v119, null, -1, v51, vcc_lo
	;; [unrolled: 2-line block ×7, first 2 shown]
	flat_load_ubyte v58, v[50:51] slc
	flat_load_ubyte v116, v[116:117] slc
	;; [unrolled: 1-line block ×8, first 2 shown]
	v_sub_nc_u32_e32 v113, v113, v66
	v_add_co_u32 v50, vcc_lo, v50, v82
	v_add_co_ci_u32_e64 v51, null, 0, v51, vcc_lo
	v_cmp_gt_i32_e32 vcc_lo, 1, v113
	s_waitcnt vmcnt(7) lgkmcnt(7)
	flat_store_byte v[10:11], v58 offset:224 glc slc
	s_waitcnt vmcnt(6) lgkmcnt(7)
	flat_store_byte v[10:11], v116 glc slc
	s_waitcnt vmcnt(5) lgkmcnt(7)
	flat_store_byte v[10:11], v117 offset:32 glc slc
	s_waitcnt vmcnt(4) lgkmcnt(7)
	flat_store_byte v[10:11], v118 offset:64 glc slc
	;; [unrolled: 2-line block ×6, first 2 shown]
	flat_store_byte v[12:13], v116 glc slc
	flat_store_byte v[12:13], v117 offset:32 glc slc
	flat_store_byte v[12:13], v118 offset:64 glc slc
	flat_store_byte v[12:13], v119 offset:96 glc slc
	flat_store_byte v[12:13], v40 offset:128 glc slc
	flat_store_byte v[12:13], v41 offset:160 glc slc
	flat_store_byte v[12:13], v42 offset:192 glc slc
	flat_store_byte v[12:13], v58 offset:224 glc slc
	v_add_co_u32 v10, s19, v10, v82
	v_add_co_ci_u32_e64 v11, null, 0, v11, s19
	v_add_co_u32 v12, s19, v12, v82
	v_add_co_ci_u32_e64 v13, null, 0, v13, s19
	s_or_b32 s22, vcc_lo, s22
	s_andn2_b32 exec_lo, exec_lo, s22
	s_cbranch_execnz .LBB4_318
; %bb.319:                              ;   in Loop: Header=BB4_77 Depth=1
	s_or_b32 exec_lo, exec_lo, s22
.LBB4_320:                              ;   in Loop: Header=BB4_77 Depth=1
	s_or_b32 exec_lo, exec_lo, s20
	v_lshlrev_b32_e32 v10, 8, v115
	v_cmp_ne_u32_e32 vcc_lo, v53, v10
	s_and_b32 exec_lo, exec_lo, vcc_lo
	s_cbranch_execz .LBB4_326
; %bb.321:                              ;   in Loop: Header=BB4_77 Depth=1
	v_add_nc_u32_e32 v11, v112, v114
	v_lshlrev_b32_e32 v12, 5, v113
	v_and_b32_e32 v11, 0xffffffe0, v11
	v_sub_nc_u32_e32 v11, v112, v11
	v_sub_nc_u32_e32 v11, v11, v12
	v_add_nc_u32_e32 v10, v10, v11
	v_sub_nc_u32_e32 v12, v53, v10
	v_cmp_lt_i32_e32 vcc_lo, 0, v12
	s_and_b32 exec_lo, exec_lo, vcc_lo
	s_cbranch_execz .LBB4_326
; %bb.322:                              ;   in Loop: Header=BB4_77 Depth=1
	s_trap 2
	ds_read_b64 v[50:51], v0
	ds_read_b128 v[112:115], v0
	v_add_nc_u32_e32 v52, v10, v52
	s_mov_b32 s47, 0
	v_ashrrev_i32_e32 v53, 31, v52
	s_waitcnt lgkmcnt(1)
	v_add_co_u32 v10, vcc_lo, v50, v52
	v_add_co_ci_u32_e64 v11, null, v51, v53, vcc_lo
	s_waitcnt lgkmcnt(0)
	v_add_co_u32 v13, vcc_lo, v112, v52
	v_add_co_ci_u32_e64 v50, null, v113, v53, vcc_lo
	v_add_co_u32 v51, vcc_lo, v114, v52
	v_add_co_ci_u32_e64 v52, null, v115, v53, vcc_lo
	s_inst_prefetch 0x1
	.p2align	6
.LBB4_323:                              ;   Parent Loop BB4_77 Depth=1
                                        ; =>  This Loop Header: Depth=2
                                        ;       Child Loop BB4_324 Depth 3
	flat_load_ubyte v53, v[10:11] slc
	s_mov_b64 s[22:23], 0
	s_mov_b32 s56, -1
	.p2align	6
.LBB4_324:                              ;   Parent Loop BB4_77 Depth=1
                                        ;     Parent Loop BB4_323 Depth=2
                                        ; =>    This Inner Loop Header: Depth=3
	s_cmp_eq_u32 s22, 1
	s_cselect_b32 vcc_lo, -1, 0
	s_cmp_eq_u32 s22, 0
	v_cndmask_b32_e32 v112, v13, v51, vcc_lo
	v_cndmask_b32_e32 v113, v50, v52, vcc_lo
	s_mov_b64 s[22:23], 1
	v_add_co_u32 v114, s19, v112, 32
	v_add_co_ci_u32_e64 v115, null, 0, v113, s19
	s_cselect_b32 s19, -1, 0
	v_cndmask_b32_e32 v51, v51, v114, vcc_lo
	v_cndmask_b32_e64 v13, v13, v114, s19
	v_cndmask_b32_e32 v52, v52, v115, vcc_lo
	v_cndmask_b32_e64 v50, v50, v115, s19
	s_and_b32 s20, exec_lo, s56
	s_mov_b32 s56, 0
	s_mov_b32 vcc_lo, s20
	s_waitcnt vmcnt(0) lgkmcnt(0)
	flat_store_byte v[112:113], v53 glc slc
	s_cbranch_vccnz .LBB4_324
; %bb.325:                              ;   in Loop: Header=BB4_323 Depth=2
	v_sub_nc_u32_e32 v12, v12, v69
	v_add_co_u32 v13, vcc_lo, v13, v83
	v_add_co_ci_u32_e64 v50, null, v50, v86, vcc_lo
	v_add_co_u32 v51, vcc_lo, v51, v83
	v_add_co_ci_u32_e64 v52, null, v52, v86, vcc_lo
	v_cmp_gt_i32_e32 vcc_lo, 1, v12
	v_add_co_u32 v10, s19, v97, v10
	v_add_co_ci_u32_e64 v11, null, v98, v11, s19
	s_or_b32 s47, vcc_lo, s47
	s_andn2_b32 exec_lo, exec_lo, s47
	s_cbranch_execnz .LBB4_323
.LBB4_326:                              ;   in Loop: Header=BB4_77 Depth=1
	s_inst_prefetch 0x2
	s_or_b32 exec_lo, exec_lo, s21
	s_mov_b32 s19, 0
.LBB4_327:                              ;   in Loop: Header=BB4_77 Depth=1
	s_and_b32 vcc_lo, exec_lo, s19
	s_cbranch_vccz .LBB4_356
; %bb.328:                              ;   in Loop: Header=BB4_77 Depth=1
	s_mov_b32 s19, -1
	s_and_saveexec_b32 s20, s16
	s_cbranch_execz .LBB4_330
; %bb.329:                              ;   in Loop: Header=BB4_77 Depth=1
	ds_read_b32 v10, v0 offset:720
	s_waitcnt lgkmcnt(0)
	v_and_b32_e32 v10, 15, v10
	v_cmp_eq_u32_e32 vcc_lo, 0, v10
	s_orn2_b32 s19, vcc_lo, exec_lo
.LBB4_330:                              ;   in Loop: Header=BB4_77 Depth=1
	s_or_b32 exec_lo, exec_lo, s20
	s_and_saveexec_b32 s20, s16
	s_cbranch_execz .LBB4_332
; %bb.331:                              ;   in Loop: Header=BB4_77 Depth=1
	ds_read_b32 v10, v0 offset:784
	s_waitcnt lgkmcnt(0)
	v_and_b32_e32 v10, 15, v10
	v_cmp_eq_u32_e32 vcc_lo, 0, v10
	s_and_b32 s21, s19, vcc_lo
	s_andn2_b32 s19, s19, exec_lo
	s_and_b32 s21, s21, exec_lo
	s_or_b32 s19, s19, s21
.LBB4_332:                              ;   in Loop: Header=BB4_77 Depth=1
	s_or_b32 exec_lo, exec_lo, s20
	s_xor_b32 s19, s19, -1
	v_mov_b32_e32 v10, 0
	v_cndmask_b32_e64 v11, 0, 1, s19
	v_mov_b32_e32 v12, v0
	v_mov_b32_e32 v112, v87
	s_mov_b32 s19, -1
	v_cmp_ne_u32_e32 vcc_lo, 0, v11
	v_mov_b32_e32 v11, v39
	s_cbranch_vccnz .LBB4_346
; %bb.333:                              ;   in Loop: Header=BB4_77 Depth=1
	v_ashrrev_i32_e32 v10, 31, v39
	s_mov_b32 s20, exec_lo
	v_lshrrev_b32_e32 v10, 22, v10
	v_add_nc_u32_e32 v10, v39, v10
	v_ashrrev_i32_e32 v12, 10, v10
	v_sub_nc_u32_e32 v50, v12, v87
	v_cmpx_lt_i32_e32 0, v50
	s_cbranch_execz .LBB4_337
; %bb.334:                              ;   in Loop: Header=BB4_77 Depth=1
	v_mov_b32_e32 v10, v36
	v_mov_b32_e32 v11, v37
	s_mov_b32 s21, 0
	.p2align	6
.LBB4_335:                              ;   Parent Loop BB4_77 Depth=1
                                        ; =>  This Inner Loop Header: Depth=2
	v_add_co_u32 v51, vcc_lo, v2, v10
	v_add_co_ci_u32_e64 v52, null, v3, v11, vcc_lo
	v_sub_nc_u32_e32 v50, v50, v66
	s_clause 0x1
	global_load_dwordx4 v[112:115], v[51:52], off slc
	global_load_dwordx4 v[116:119], v[51:52], off offset:512 slc
	v_add_co_u32 v51, vcc_lo, v48, v10
	v_add_co_ci_u32_e64 v52, null, v49, v11, vcc_lo
	v_cmp_gt_i32_e32 vcc_lo, 1, v50
	v_add_co_u32 v10, s19, v10, v84
	v_add_co_ci_u32_e64 v11, null, 0, v11, s19
	s_or_b32 s21, vcc_lo, s21
	s_waitcnt vmcnt(1)
	global_store_dwordx4 v[51:52], v[112:115], off glc slc
	s_waitcnt vmcnt(0)
	global_store_dwordx4 v[51:52], v[116:119], off offset:512 glc slc
	s_andn2_b32 exec_lo, exec_lo, s21
	s_cbranch_execnz .LBB4_335
; %bb.336:                              ;   in Loop: Header=BB4_77 Depth=1
	s_or_b32 exec_lo, exec_lo, s21
.LBB4_337:                              ;   in Loop: Header=BB4_77 Depth=1
	s_or_b32 exec_lo, exec_lo, s20
	v_lshlrev_b32_e32 v13, 10, v12
	v_mov_b32_e32 v10, 0
	s_mov_b32 s19, 0
	s_mov_b32 s21, exec_lo
                                        ; implicit-def: $vgpr11
                                        ; implicit-def: $vgpr12
                                        ; implicit-def: $vgpr112
	v_cmpx_ne_u32_e64 v39, v13
	s_cbranch_execz .LBB4_345
; %bb.338:                              ;   in Loop: Header=BB4_77 Depth=1
	v_lshlrev_b32_e32 v10, 5, v50
	v_sub_nc_u32_e32 v12, v39, v13
	s_mov_b32 s22, exec_lo
	v_sub_nc_u32_e32 v10, v99, v10
	v_ashrrev_i32_e32 v50, 31, v12
	v_ashrrev_i32_e32 v11, 31, v10
	v_lshrrev_b32_e32 v50, 23, v50
	v_lshrrev_b32_e32 v11, 27, v11
	v_add_nc_u32_e32 v53, v12, v50
	v_add_nc_u32_e32 v11, v10, v11
	v_and_b32_e32 v50, 0xfffffe00, v53
	v_ashrrev_i32_e32 v53, 9, v53
	v_and_b32_e32 v51, 0xffffffe0, v11
	v_sub_nc_u32_e32 v52, v12, v50
	v_ashrrev_i32_e32 v112, 5, v11
	v_sub_nc_u32_e32 v51, v10, v51
	v_cmp_lt_i32_e32 vcc_lo, 15, v52
	v_lshlrev_b32_e32 v10, 4, v51
	v_add_co_ci_u32_e64 v53, null, 0, v53, vcc_lo
	v_lshl_add_u32 v11, v112, 9, v10
	v_sub_nc_u32_e32 v53, v53, v112
	v_sub_nc_u32_e32 v10, v12, v11
	v_cmpx_lt_i32_e32 15, v10
	s_cbranch_execz .LBB4_342
; %bb.339:                              ;   in Loop: Header=BB4_77 Depth=1
	v_add_nc_u32_e32 v11, v11, v13
	s_mov_b32 s23, 0
	v_ashrrev_i32_e32 v12, 31, v11
	.p2align	6
.LBB4_340:                              ;   Parent Loop BB4_77 Depth=1
                                        ; =>  This Inner Loop Header: Depth=2
	v_add_co_u32 v112, s19, v2, v11
	v_add_co_ci_u32_e64 v113, null, v3, v12, s19
	v_sub_nc_u32_e32 v10, v10, v81
	v_add_co_u32 v116, s19, v48, v11
	global_load_dwordx4 v[112:115], v[112:113], off slc
	v_add_co_ci_u32_e64 v117, null, v49, v12, s19
	v_cmp_gt_i32_e64 s19, 16, v10
	v_add_co_u32 v11, s20, v11, v101
	v_sub_nc_u32_e32 v53, v53, v66
	v_add_co_ci_u32_e64 v12, null, v12, v102, s20
	s_or_b32 s23, s19, s23
	s_waitcnt vmcnt(0)
	global_store_dwordx4 v[116:117], v[112:115], off glc slc
	s_andn2_b32 exec_lo, exec_lo, s23
	s_cbranch_execnz .LBB4_340
; %bb.341:                              ;   in Loop: Header=BB4_77 Depth=1
	s_or_b32 exec_lo, exec_lo, s23
.LBB4_342:                              ;   in Loop: Header=BB4_77 Depth=1
	s_or_b32 exec_lo, exec_lo, s22
	v_and_b32_e32 v113, 15, v39
	v_mov_b32_e32 v10, 0
	s_mov_b32 s20, 0
	s_mov_b32 s22, exec_lo
                                        ; implicit-def: $vgpr12
                                        ; implicit-def: $vgpr112
	v_cndmask_b32_e32 v11, v52, v113, vcc_lo
	v_cmpx_ne_u32_e32 0, v11
	s_cbranch_execz .LBB4_344
; %bb.343:                              ;   in Loop: Header=BB4_77 Depth=1
	v_cmp_lt_i32_e64 s19, 0, v53
	s_mov_b32 s20, exec_lo
	v_cndmask_b32_e64 v10, 0, v66, s19
	v_sub_nc_u32_e32 v10, v10, v53
	v_lshl_add_u32 v12, v10, 5, v51
	v_sub_nc_u32_e32 v51, v52, v113
	v_ashrrev_i32_e32 v10, 31, v12
	v_cndmask_b32_e32 v51, 0, v51, vcc_lo
	v_lshrrev_b32_e32 v10, 27, v10
	v_add_nc_u32_e32 v52, v12, v10
	v_add3_u32 v10, v50, v13, v51
	v_ashrrev_i32_e32 v112, 5, v52
.LBB4_344:                              ;   in Loop: Header=BB4_77 Depth=1
	s_or_b32 exec_lo, exec_lo, s22
	s_and_b32 s19, s20, exec_lo
.LBB4_345:                              ;   in Loop: Header=BB4_77 Depth=1
	s_or_b32 exec_lo, exec_lo, s21
.LBB4_346:                              ;   in Loop: Header=BB4_77 Depth=1
	s_and_saveexec_b32 s20, s19
	s_cbranch_execz .LBB4_355
; %bb.347:                              ;   in Loop: Header=BB4_77 Depth=1
	v_ashrrev_i32_e32 v13, 31, v11
	v_ashrrev_i32_e32 v50, 31, v12
	s_mov_b32 s19, exec_lo
	v_add_nc_u32_sdwa v13, v11, v13 dst_sel:DWORD dst_unused:UNUSED_PAD src0_sel:DWORD src1_sel:BYTE_3
	v_lshrrev_b32_e32 v50, 27, v50
	v_ashrrev_i32_e32 v51, 8, v13
	v_sub_nc_u32_e32 v13, v51, v112
	v_cmpx_lt_i32_e32 0, v13
	s_cbranch_execz .LBB4_351
; %bb.348:                              ;   in Loop: Header=BB4_77 Depth=1
	v_add_nc_u32_e32 v52, v12, v50
	v_lshlrev_b32_e32 v53, 8, v112
	s_mov_b32 s21, 0
	v_and_b32_e32 v52, 0xffffffe0, v52
	v_sub_nc_u32_e32 v52, v12, v52
	v_add3_u32 v52, v10, v52, v53
	v_ashrrev_i32_e32 v53, 31, v52
.LBB4_349:                              ;   Parent Loop BB4_77 Depth=1
                                        ; =>  This Inner Loop Header: Depth=2
	v_add_co_u32 v112, vcc_lo, v52, v2
	v_add_co_ci_u32_e64 v113, null, v53, v3, vcc_lo
	v_sub_nc_u32_e32 v13, v13, v66
	s_clause 0x7
	flat_load_ubyte v114, v[112:113] slc
	flat_load_ubyte v115, v[112:113] offset:32 slc
	flat_load_ubyte v116, v[112:113] offset:64 slc
	;; [unrolled: 1-line block ×7, first 2 shown]
	v_add_co_u32 v112, vcc_lo, v52, v48
	v_add_co_ci_u32_e64 v113, null, v53, v49, vcc_lo
	v_add_co_u32 v2, vcc_lo, v2, v82
	v_add_co_ci_u32_e64 v3, null, 0, v3, vcc_lo
	;; [unrolled: 2-line block ×3, first 2 shown]
	v_cmp_gt_i32_e32 vcc_lo, 1, v13
	s_waitcnt vmcnt(7) lgkmcnt(7)
	flat_store_byte v[112:113], v114 glc slc
	s_waitcnt vmcnt(6) lgkmcnt(7)
	flat_store_byte v[112:113], v115 offset:32 glc slc
	s_waitcnt vmcnt(5) lgkmcnt(7)
	flat_store_byte v[112:113], v116 offset:64 glc slc
	;; [unrolled: 2-line block ×7, first 2 shown]
	s_or_b32 s21, vcc_lo, s21
	s_andn2_b32 exec_lo, exec_lo, s21
	s_cbranch_execnz .LBB4_349
; %bb.350:                              ;   in Loop: Header=BB4_77 Depth=1
	s_or_b32 exec_lo, exec_lo, s21
.LBB4_351:                              ;   in Loop: Header=BB4_77 Depth=1
	s_or_b32 exec_lo, exec_lo, s19
	v_lshlrev_b32_e32 v2, 8, v51
	v_cmp_ne_u32_e32 vcc_lo, v11, v2
	s_and_b32 exec_lo, exec_lo, vcc_lo
	s_cbranch_execz .LBB4_355
; %bb.352:                              ;   in Loop: Header=BB4_77 Depth=1
	v_add_nc_u32_e32 v3, v12, v50
	v_and_b32_e32 v3, 0xffffffe0, v3
	v_sub_nc_u32_e32 v3, v12, v3
	v_lshlrev_b32_e32 v12, 5, v13
	v_sub_nc_u32_e32 v3, v3, v12
	v_add_nc_u32_e32 v12, v2, v3
	v_sub_nc_u32_e32 v11, v11, v12
	v_cmp_lt_i32_e32 vcc_lo, 0, v11
	s_and_b32 exec_lo, exec_lo, vcc_lo
	s_cbranch_execz .LBB4_355
; %bb.353:                              ;   in Loop: Header=BB4_77 Depth=1
	s_trap 2
	ds_read_b64 v[2:3], v0
	v_add_nc_u32_e32 v10, v12, v10
	s_mov_b32 s21, 0
	v_ashrrev_i32_e32 v12, 31, v10
	.p2align	6
.LBB4_354:                              ;   Parent Loop BB4_77 Depth=1
                                        ; =>  This Inner Loop Header: Depth=2
	s_waitcnt lgkmcnt(0)
	v_add_co_u32 v48, vcc_lo, v2, v10
	v_add_co_ci_u32_e64 v49, null, v3, v12, vcc_lo
	v_sub_nc_u32_e32 v11, v11, v69
	v_add_co_u32 v10, s19, v10, v97
	flat_load_ubyte v13, v[48:49] slc
	v_add_co_ci_u32_e64 v12, null, v12, v98, s19
	v_cmp_gt_i32_e32 vcc_lo, 1, v11
	s_or_b32 s21, vcc_lo, s21
	s_waitcnt vmcnt(0) lgkmcnt(0)
	flat_store_byte v[48:49], v13 glc slc
	s_andn2_b32 exec_lo, exec_lo, s21
	s_cbranch_execnz .LBB4_354
.LBB4_355:                              ;   in Loop: Header=BB4_77 Depth=1
	s_or_b32 exec_lo, exec_lo, s20
.LBB4_356:                              ;   in Loop: Header=BB4_77 Depth=1
	v_cmp_lt_i32_e64 s19, 0, v39
	s_and_saveexec_b32 s20, s7
	s_cbranch_execnz .LBB4_358
	s_branch .LBB4_399
.LBB4_357:                              ;   in Loop: Header=BB4_77 Depth=1
	s_mov_b32 s19, 0
	s_and_saveexec_b32 s20, s7
	s_cbranch_execz .LBB4_399
.LBB4_358:                              ;   in Loop: Header=BB4_77 Depth=1
	s_and_saveexec_b32 s21, s27
	s_xor_b32 s21, exec_lo, s21
	s_cbranch_execz .LBB4_396
; %bb.359:                              ;   in Loop: Header=BB4_77 Depth=1
	s_and_saveexec_b32 s22, s12
	s_cbranch_execz .LBB4_395
; %bb.360:                              ;   in Loop: Header=BB4_77 Depth=1
	s_mov_b32 s47, exec_lo
	s_mov_b32 s23, exec_lo
	v_mbcnt_lo_u32_b32 v2, s47, 0
	s_waitcnt vmcnt(0) lgkmcnt(0)
	s_waitcnt_vscnt null, 0x0
	buffer_gl1_inv
	buffer_gl0_inv
	v_cmpx_eq_u32_e32 0, v2
	s_cbranch_execz .LBB4_362
; %bb.361:                              ;   in Loop: Header=BB4_77 Depth=1
	s_bcnt1_i32_b32 s47, s47
	v_mov_b32_e32 v3, v1
	v_mov_b32_e32 v2, s47
	ds_add_u64 v0, v[2:3]
	s_trap 2
.LBB4_362:                              ;   in Loop: Header=BB4_77 Depth=1
	s_or_b32 exec_lo, exec_lo, s23
	s_trap 2
	ds_read_b64 v[2:3], v0
	s_waitcnt lgkmcnt(0)
	buffer_gl0_inv
	v_add_co_u32 v24, vcc_lo, v24, v66
	v_add_co_ci_u32_e64 v25, null, 0, v25, vcc_lo
	s_mov_b32 s23, exec_lo
	v_cmpx_lt_u64_e64 v[2:3], v[24:25]
	s_cbranch_execz .LBB4_394
; %bb.363:                              ;   in Loop: Header=BB4_77 Depth=1
	s_mov_b32 s47, 0
	s_mov_b32 s58, 0
                                        ; implicit-def: $sgpr56
                                        ; implicit-def: $sgpr57
	s_inst_prefetch 0x1
	s_branch .LBB4_365
	.p2align	6
.LBB4_364:                              ;   in Loop: Header=BB4_365 Depth=2
	s_or_b32 exec_lo, exec_lo, s60
	s_and_b32 s59, exec_lo, s61
	s_or_b32 s47, s59, s47
	s_andn2_b32 s56, s56, exec_lo
	s_and_b32 s59, s57, exec_lo
	s_or_b32 s56, s56, s59
	s_andn2_b32 exec_lo, exec_lo, s47
	s_cbranch_execz .LBB4_392
.LBB4_365:                              ;   Parent Loop BB4_77 Depth=1
                                        ; =>  This Inner Loop Header: Depth=2
	s_add_i32 s58, s58, 1
	s_cmpk_lg_i32 s58, 0x2710
	s_cselect_b32 s59, -1, 0
	s_and_b32 vcc_lo, exec_lo, s59
	s_cbranch_vccz .LBB4_367
; %bb.366:                              ;   in Loop: Header=BB4_365 Depth=2
	s_mov_b32 s61, -1
	s_or_b32 s57, s57, exec_lo
	s_and_saveexec_b32 s60, s59
	s_cbranch_execz .LBB4_364
	s_branch .LBB4_368
	.p2align	6
.LBB4_367:                              ;   in Loop: Header=BB4_365 Depth=2
	s_trap 2
	ds_read_b64 v[2:3], v0
	s_andn2_b32 s59, s59, exec_lo
	s_mov_b32 s58, 0
	s_waitcnt lgkmcnt(0)
	flat_load_dword v2, v[2:3] glc dlc
	s_waitcnt vmcnt(0) lgkmcnt(0)
	buffer_gl1_inv
	buffer_gl0_inv
	v_cmp_eq_u32_e32 vcc_lo, 0, v2
	s_and_b32 s60, vcc_lo, exec_lo
	s_or_b32 s59, s59, s60
	s_mov_b32 s61, -1
	s_or_b32 s57, s57, exec_lo
	s_and_saveexec_b32 s60, s59
	s_cbranch_execz .LBB4_364
.LBB4_368:                              ;   in Loop: Header=BB4_365 Depth=2
	s_sleep 1
	s_trap 2
	ds_read_b64 v[2:3], v0
	s_waitcnt lgkmcnt(0)
	buffer_gl0_inv
	s_andn2_b32 s57, s57, exec_lo
	v_cmp_ge_u64_e32 vcc_lo, v[2:3], v[24:25]
	s_orn2_b32 s61, vcc_lo, exec_lo
	s_branch .LBB4_364
.LBB4_369:                              ;   in Loop: Header=BB4_77 Depth=1
	s_inst_prefetch 0x2
	s_or_b32 exec_lo, exec_lo, s46
	s_and_saveexec_b32 s46, s47
	s_xor_b32 s46, exec_lo, s46
	s_cbranch_execz .LBB4_371
; %bb.370:                              ;   in Loop: Header=BB4_77 Depth=1
	ds_write_b32 v0, v70
	s_trap 2
.LBB4_371:                              ;   in Loop: Header=BB4_77 Depth=1
	s_or_b32 exec_lo, exec_lo, s23
	;;#ASMSTART
	s_wakeup
	;;#ASMEND
.LBB4_372:                              ;   in Loop: Header=BB4_77 Depth=1
	s_or_b32 exec_lo, exec_lo, s22
.LBB4_373:                              ;   in Loop: Header=BB4_77 Depth=1
	s_andn2_saveexec_b32 s21, s21
	s_cbranch_execz .LBB4_375
; %bb.374:                              ;   in Loop: Header=BB4_77 Depth=1
	s_waitcnt vmcnt(0) lgkmcnt(0)
	s_waitcnt_vscnt null, 0x0
	buffer_gl1_inv
	buffer_gl0_inv
	s_barrier
.LBB4_375:                              ;   in Loop: Header=BB4_77 Depth=1
	s_or_b32 exec_lo, exec_lo, s21
.LBB4_376:                              ;   in Loop: Header=BB4_77 Depth=1
	s_or_b32 exec_lo, exec_lo, s20
	v_and_b32_e32 v2, 16, v55
	s_and_saveexec_b32 s20, s14
	s_xor_b32 s20, exec_lo, s20
	s_cbranch_execz .LBB4_380
; %bb.377:                              ;   in Loop: Header=BB4_77 Depth=1
	v_and_b32_e32 v2, 16, v55
	v_cmp_ne_u32_e32 vcc_lo, 0, v2
	v_and_b32_e32 v2, 16, v55
	s_and_b32 s21, vcc_lo, s19
	s_and_saveexec_b32 s19, s21
	s_cbranch_execz .LBB4_379
; %bb.378:                              ;   in Loop: Header=BB4_77 Depth=1
	v_mov_b32_e32 v2, 1
	s_waitcnt vmcnt(0) lgkmcnt(0)
	s_waitcnt_vscnt null, 0x0
	buffer_gl1_inv
	buffer_gl0_inv
.LBB4_379:                              ;   in Loop: Header=BB4_77 Depth=1
	s_or_b32 exec_lo, exec_lo, s19
.LBB4_380:                              ;   in Loop: Header=BB4_77 Depth=1
	s_andn2_saveexec_b32 s19, s20
	s_cbranch_execz .LBB4_422
; %bb.381:                              ;   in Loop: Header=BB4_77 Depth=1
	s_and_saveexec_b32 s20, s27
	s_xor_b32 s20, exec_lo, s20
	s_cbranch_execz .LBB4_419
; %bb.382:                              ;   in Loop: Header=BB4_77 Depth=1
	s_and_saveexec_b32 s21, s12
	s_cbranch_execz .LBB4_418
; %bb.383:                              ;   in Loop: Header=BB4_77 Depth=1
	s_mov_b32 s23, exec_lo
	s_mov_b32 s22, exec_lo
	v_mbcnt_lo_u32_b32 v3, s23, 0
	;;#ASMSTART
	s_waitcnt lgkmcnt(0) vmcnt(0)
	;;#ASMEND
	v_cmpx_eq_u32_e32 0, v3
	s_cbranch_execz .LBB4_385
; %bb.384:                              ;   in Loop: Header=BB4_77 Depth=1
	s_bcnt1_i32_b32 s23, s23
	v_mov_b32_e32 v11, v1
	v_mov_b32_e32 v10, s23
	s_waitcnt vmcnt(0) lgkmcnt(0)
	s_waitcnt_vscnt null, 0x0
	ds_add_u64 v0, v[10:11]
	s_trap 2
.LBB4_385:                              ;   in Loop: Header=BB4_77 Depth=1
	s_or_b32 exec_lo, exec_lo, s22
	s_trap 2
	ds_read_b64 v[10:11], v0
	s_waitcnt vmcnt(0) lgkmcnt(0)
	buffer_gl0_inv
	v_add_co_u32 v24, vcc_lo, v24, v66
	v_add_co_ci_u32_e64 v25, null, 0, v25, vcc_lo
	s_mov_b32 s22, exec_lo
	v_cmpx_lt_u64_e64 v[10:11], v[24:25]
	s_cbranch_execz .LBB4_417
; %bb.386:                              ;   in Loop: Header=BB4_77 Depth=1
	s_mov_b32 s23, 0
	s_mov_b32 s56, 0
                                        ; implicit-def: $sgpr46
                                        ; implicit-def: $sgpr47
	s_inst_prefetch 0x1
	s_branch .LBB4_388
	.p2align	6
.LBB4_387:                              ;   in Loop: Header=BB4_388 Depth=2
	s_or_b32 exec_lo, exec_lo, s58
	s_and_b32 s57, exec_lo, s59
	s_or_b32 s23, s57, s23
	s_andn2_b32 s46, s46, exec_lo
	s_and_b32 s57, s47, exec_lo
	s_or_b32 s46, s46, s57
	s_andn2_b32 exec_lo, exec_lo, s23
	s_cbranch_execz .LBB4_415
.LBB4_388:                              ;   Parent Loop BB4_77 Depth=1
                                        ; =>  This Inner Loop Header: Depth=2
	s_add_i32 s56, s56, 1
	s_cmpk_lg_i32 s56, 0x2710
	s_cselect_b32 s57, -1, 0
	s_and_b32 vcc_lo, exec_lo, s57
	s_cbranch_vccz .LBB4_390
; %bb.389:                              ;   in Loop: Header=BB4_388 Depth=2
	s_mov_b32 s59, -1
	s_or_b32 s47, s47, exec_lo
	s_and_saveexec_b32 s58, s57
	s_cbranch_execz .LBB4_387
	s_branch .LBB4_391
	.p2align	6
.LBB4_390:                              ;   in Loop: Header=BB4_388 Depth=2
	s_trap 2
	ds_read_b64 v[10:11], v0
	s_andn2_b32 s57, s57, exec_lo
	s_mov_b32 s56, 0
	s_waitcnt lgkmcnt(0)
	s_waitcnt_vscnt null, 0x0
	flat_load_dword v3, v[10:11] glc dlc
	s_waitcnt vmcnt(0) lgkmcnt(0)
	buffer_gl1_inv
	buffer_gl0_inv
	v_cmp_eq_u32_e32 vcc_lo, 0, v3
	s_and_b32 s58, vcc_lo, exec_lo
	s_or_b32 s57, s57, s58
	s_mov_b32 s59, -1
	s_or_b32 s47, s47, exec_lo
	s_and_saveexec_b32 s58, s57
	s_cbranch_execz .LBB4_387
.LBB4_391:                              ;   in Loop: Header=BB4_388 Depth=2
	s_sleep 1
	s_trap 2
	ds_read_b64 v[10:11], v0
	s_waitcnt lgkmcnt(0)
	buffer_gl0_inv
	s_andn2_b32 s47, s47, exec_lo
	v_cmp_ge_u64_e32 vcc_lo, v[10:11], v[24:25]
	s_orn2_b32 s59, vcc_lo, exec_lo
	s_branch .LBB4_387
.LBB4_392:                              ;   in Loop: Header=BB4_77 Depth=1
	s_inst_prefetch 0x2
	s_or_b32 exec_lo, exec_lo, s47
	s_and_saveexec_b32 s47, s56
	s_xor_b32 s47, exec_lo, s47
	s_cbranch_execz .LBB4_394
; %bb.393:                              ;   in Loop: Header=BB4_77 Depth=1
	ds_write_b32 v0, v70
	s_trap 2
.LBB4_394:                              ;   in Loop: Header=BB4_77 Depth=1
	s_or_b32 exec_lo, exec_lo, s23
	;;#ASMSTART
	s_wakeup
	;;#ASMEND
.LBB4_395:                              ;   in Loop: Header=BB4_77 Depth=1
	s_or_b32 exec_lo, exec_lo, s22
.LBB4_396:                              ;   in Loop: Header=BB4_77 Depth=1
	s_andn2_saveexec_b32 s21, s21
	s_cbranch_execz .LBB4_398
; %bb.397:                              ;   in Loop: Header=BB4_77 Depth=1
	s_waitcnt vmcnt(0) lgkmcnt(0)
	s_waitcnt_vscnt null, 0x0
	buffer_gl1_inv
	buffer_gl0_inv
	s_barrier
.LBB4_398:                              ;   in Loop: Header=BB4_77 Depth=1
	s_or_b32 exec_lo, exec_lo, s21
.LBB4_399:                              ;   in Loop: Header=BB4_77 Depth=1
	s_or_b32 exec_lo, exec_lo, s20
	v_and_b32_e32 v2, 16, v55
	s_and_saveexec_b32 s20, s14
	s_xor_b32 s20, exec_lo, s20
	s_cbranch_execz .LBB4_403
; %bb.400:                              ;   in Loop: Header=BB4_77 Depth=1
	v_and_b32_e32 v2, 16, v55
	v_cmp_ne_u32_e32 vcc_lo, 0, v2
	v_and_b32_e32 v2, 16, v55
	s_and_b32 s21, vcc_lo, s19
	s_and_saveexec_b32 s19, s21
	s_cbranch_execz .LBB4_402
; %bb.401:                              ;   in Loop: Header=BB4_77 Depth=1
	v_mov_b32_e32 v2, 1
	s_waitcnt vmcnt(0) lgkmcnt(0)
	s_waitcnt_vscnt null, 0x0
	buffer_gl1_inv
	buffer_gl0_inv
.LBB4_402:                              ;   in Loop: Header=BB4_77 Depth=1
	s_or_b32 exec_lo, exec_lo, s19
.LBB4_403:                              ;   in Loop: Header=BB4_77 Depth=1
	s_andn2_saveexec_b32 s19, s20
	s_cbranch_execz .LBB4_473
; %bb.404:                              ;   in Loop: Header=BB4_77 Depth=1
	s_and_saveexec_b32 s20, s27
	s_xor_b32 s20, exec_lo, s20
	s_cbranch_execz .LBB4_470
; %bb.405:                              ;   in Loop: Header=BB4_77 Depth=1
	s_and_saveexec_b32 s21, s12
	s_cbranch_execz .LBB4_469
; %bb.406:                              ;   in Loop: Header=BB4_77 Depth=1
	s_mov_b32 s23, exec_lo
	s_mov_b32 s22, exec_lo
	v_mbcnt_lo_u32_b32 v3, s23, 0
	;;#ASMSTART
	s_waitcnt lgkmcnt(0) vmcnt(0)
	;;#ASMEND
	v_cmpx_eq_u32_e32 0, v3
	s_cbranch_execz .LBB4_408
; %bb.407:                              ;   in Loop: Header=BB4_77 Depth=1
	s_bcnt1_i32_b32 s23, s23
	v_mov_b32_e32 v11, v1
	v_mov_b32_e32 v10, s23
	s_waitcnt vmcnt(0) lgkmcnt(0)
	s_waitcnt_vscnt null, 0x0
	ds_add_u64 v0, v[10:11]
	s_trap 2
.LBB4_408:                              ;   in Loop: Header=BB4_77 Depth=1
	s_or_b32 exec_lo, exec_lo, s22
	s_trap 2
	ds_read_b64 v[10:11], v0
	s_waitcnt vmcnt(0) lgkmcnt(0)
	buffer_gl0_inv
	v_add_co_u32 v24, vcc_lo, v24, v66
	v_add_co_ci_u32_e64 v25, null, 0, v25, vcc_lo
	s_mov_b32 s22, exec_lo
	v_cmpx_lt_u64_e64 v[10:11], v[24:25]
	s_cbranch_execz .LBB4_468
; %bb.409:                              ;   in Loop: Header=BB4_77 Depth=1
	s_mov_b32 s23, 0
	s_mov_b32 s57, 0
                                        ; implicit-def: $sgpr47
                                        ; implicit-def: $sgpr56
	s_inst_prefetch 0x1
	s_branch .LBB4_411
	.p2align	6
.LBB4_410:                              ;   in Loop: Header=BB4_411 Depth=2
	s_or_b32 exec_lo, exec_lo, s59
	s_and_b32 s58, exec_lo, s60
	s_or_b32 s23, s58, s23
	s_andn2_b32 s47, s47, exec_lo
	s_and_b32 s58, s56, exec_lo
	s_or_b32 s47, s47, s58
	s_andn2_b32 exec_lo, exec_lo, s23
	s_cbranch_execz .LBB4_466
.LBB4_411:                              ;   Parent Loop BB4_77 Depth=1
                                        ; =>  This Inner Loop Header: Depth=2
	s_add_i32 s57, s57, 1
	s_cmpk_lg_i32 s57, 0x2710
	s_cselect_b32 s58, -1, 0
	s_and_b32 vcc_lo, exec_lo, s58
	s_cbranch_vccz .LBB4_413
; %bb.412:                              ;   in Loop: Header=BB4_411 Depth=2
	s_mov_b32 s60, -1
	s_or_b32 s56, s56, exec_lo
	s_and_saveexec_b32 s59, s58
	s_cbranch_execz .LBB4_410
	s_branch .LBB4_414
	.p2align	6
.LBB4_413:                              ;   in Loop: Header=BB4_411 Depth=2
	s_trap 2
	ds_read_b64 v[10:11], v0
	s_andn2_b32 s58, s58, exec_lo
	s_mov_b32 s57, 0
	s_waitcnt lgkmcnt(0)
	s_waitcnt_vscnt null, 0x0
	flat_load_dword v3, v[10:11] glc dlc
	s_waitcnt vmcnt(0) lgkmcnt(0)
	buffer_gl1_inv
	buffer_gl0_inv
	v_cmp_eq_u32_e32 vcc_lo, 0, v3
	s_and_b32 s59, vcc_lo, exec_lo
	s_or_b32 s58, s58, s59
	s_mov_b32 s60, -1
	s_or_b32 s56, s56, exec_lo
	s_and_saveexec_b32 s59, s58
	s_cbranch_execz .LBB4_410
.LBB4_414:                              ;   in Loop: Header=BB4_411 Depth=2
	s_sleep 1
	s_trap 2
	ds_read_b64 v[10:11], v0
	s_waitcnt lgkmcnt(0)
	buffer_gl0_inv
	s_andn2_b32 s56, s56, exec_lo
	v_cmp_ge_u64_e32 vcc_lo, v[10:11], v[24:25]
	s_orn2_b32 s60, vcc_lo, exec_lo
	s_branch .LBB4_410
.LBB4_415:                              ;   in Loop: Header=BB4_77 Depth=1
	s_inst_prefetch 0x2
	s_or_b32 exec_lo, exec_lo, s23
	s_and_saveexec_b32 s23, s46
	s_xor_b32 s23, exec_lo, s23
	s_cbranch_execz .LBB4_417
; %bb.416:                              ;   in Loop: Header=BB4_77 Depth=1
	ds_write_b32 v0, v70
	s_trap 2
.LBB4_417:                              ;   in Loop: Header=BB4_77 Depth=1
	s_or_b32 exec_lo, exec_lo, s22
	;;#ASMSTART
	s_wakeup
	;;#ASMEND
.LBB4_418:                              ;   in Loop: Header=BB4_77 Depth=1
	s_or_b32 exec_lo, exec_lo, s21
.LBB4_419:                              ;   in Loop: Header=BB4_77 Depth=1
	s_andn2_saveexec_b32 s20, s20
	s_cbranch_execz .LBB4_421
; %bb.420:                              ;   in Loop: Header=BB4_77 Depth=1
	;;#ASMSTART
	s_waitcnt lgkmcnt(0) vmcnt(0)
	;;#ASMEND
	s_barrier
.LBB4_421:                              ;   in Loop: Header=BB4_77 Depth=1
	s_or_b32 exec_lo, exec_lo, s20
.LBB4_422:                              ;   in Loop: Header=BB4_77 Depth=1
	s_or_b32 exec_lo, exec_lo, s19
	v_cmp_ne_u32_e32 vcc_lo, 0, v2
	s_xor_b32 s19, s10, -1
	s_and_b32 s20, vcc_lo, s19
	s_and_saveexec_b32 s19, s20
	s_cbranch_execz .LBB4_424
; %bb.423:                              ;   in Loop: Header=BB4_77 Depth=1
	s_waitcnt vmcnt(0) lgkmcnt(0)
	s_waitcnt_vscnt null, 0x0
	flat_store_dword v[26:27], v70
.LBB4_424:                              ;   in Loop: Header=BB4_77 Depth=1
	s_or_b32 exec_lo, exec_lo, s19
	v_and_b32_e32 v2, 48, v55
	s_mov_b32 s19, exec_lo
	v_cmpx_ne_u32_e32 0, v2
	s_cbranch_execz .LBB4_426
; %bb.425:                              ;   in Loop: Header=BB4_77 Depth=1
	v_add_co_u32 v8, vcc_lo, v8, 1
	v_add_co_ci_u32_e64 v9, null, 0, v9, vcc_lo
	s_waitcnt vmcnt(0) lgkmcnt(0)
	s_waitcnt_vscnt null, 0x0
	flat_store_dwordx2 v[20:21], v[8:9]
.LBB4_426:                              ;   in Loop: Header=BB4_77 Depth=1
	s_or_b32 exec_lo, exec_lo, s19
	v_mov_b32_e32 v10, v38
.LBB4_427:                              ;   in Loop: Header=BB4_77 Depth=1
	s_or_b32 exec_lo, exec_lo, s45
	s_mov_b32 s19, 0
	s_and_saveexec_b32 s20, s17
	s_cbranch_execz .LBB4_569
; %bb.428:                              ;   in Loop: Header=BB4_77 Depth=1
	v_sub_nc_u32_e32 v2, v103, v10
	v_and_b32_e32 v3, 12, v55
	s_mov_b32 s21, exec_lo
	v_min_i32_e32 v2, v38, v2
	v_cmpx_ne_u32_e32 0, v3
	s_cbranch_execz .LBB4_454
; %bb.429:                              ;   in Loop: Header=BB4_77 Depth=1
	v_and_b32_e32 v48, 8, v55
	s_mov_b32 s22, exec_lo
	s_waitcnt vmcnt(0) lgkmcnt(1)
	v_add_co_u32 v12, vcc_lo, v28, v48
	v_add_co_ci_u32_e64 v13, null, 0, v29, vcc_lo
	v_add_co_u32 v10, vcc_lo, v8, 1
	v_add_co_ci_u32_e64 v11, null, 0, v9, vcc_lo
	v_cmpx_lt_u64_e64 v[12:13], v[10:11]
	s_cbranch_execz .LBB4_441
; %bb.430:                              ;   in Loop: Header=BB4_77 Depth=1
	v_and_b32_e32 v3, 64, v55
	s_mov_b32 s23, 0
	s_mov_b32 s56, 0
                                        ; implicit-def: $sgpr45
                                        ; implicit-def: $sgpr46
                                        ; implicit-def: $sgpr47
	v_cmp_eq_u32_e32 vcc_lo, 0, v3
	s_branch .LBB4_434
.LBB4_431:                              ;   in Loop: Header=BB4_434 Depth=2
	s_waitcnt vmcnt(0) lgkmcnt(0)
	v_add_co_u32 v12, s19, v28, v48
	v_add_co_ci_u32_e64 v13, null, 0, v29, s19
	s_or_b32 s59, s59, exec_lo
	v_cmp_ge_u64_e64 s19, v[12:13], v[10:11]
	s_orn2_b32 s58, s19, exec_lo
.LBB4_432:                              ;   in Loop: Header=BB4_434 Depth=2
	s_or_b32 exec_lo, exec_lo, s61
	s_andn2_b32 s19, s47, exec_lo
	s_and_b32 s47, s59, exec_lo
	s_andn2_b32 s46, s46, exec_lo
	s_and_b32 s58, s58, exec_lo
	s_or_b32 s47, s19, s47
	s_or_b32 s46, s46, s58
.LBB4_433:                              ;   in Loop: Header=BB4_434 Depth=2
	s_or_b32 exec_lo, exec_lo, s57
	s_and_b32 s19, exec_lo, s46
	s_or_b32 s23, s19, s23
	s_andn2_b32 s19, s45, exec_lo
	s_and_b32 s45, s47, exec_lo
	s_or_b32 s45, s19, s45
	s_andn2_b32 exec_lo, exec_lo, s23
	s_cbranch_execz .LBB4_438
.LBB4_434:                              ;   Parent Loop BB4_77 Depth=1
                                        ; =>  This Inner Loop Header: Depth=2
	s_sleep 1
	s_waitcnt vmcnt(0) lgkmcnt(0)
	flat_load_dwordx2 v[28:29], v[20:21] glc dlc
	s_or_b32 s47, s47, exec_lo
	s_or_b32 s46, s46, exec_lo
                                        ; implicit-def: $vgpr3
	s_and_saveexec_b32 s57, vcc_lo
	s_cbranch_execz .LBB4_433
; %bb.435:                              ;   in Loop: Header=BB4_434 Depth=2
	s_cmpk_lt_i32 s56, 0x270f
	s_mov_b32 s58, -1
	s_cselect_b32 s60, -1, 0
	s_cmpk_gt_i32 s56, 0x270e
	s_cbranch_scc0 .LBB4_437
; %bb.436:                              ;   in Loop: Header=BB4_434 Depth=2
	s_trap 2
	ds_read_b64 v[12:13], v0
	s_andn2_b32 s56, s60, exec_lo
	s_mov_b32 s59, 0
	s_waitcnt vmcnt(0) lgkmcnt(0)
	s_waitcnt_vscnt null, 0x0
	flat_load_dword v3, v[12:13] glc dlc
	s_waitcnt vmcnt(0) lgkmcnt(0)
	buffer_gl1_inv
	buffer_gl0_inv
	v_cmp_eq_u32_e64 s19, 0, v3
	s_and_b32 s19, s19, exec_lo
	s_or_b32 s60, s56, s19
	s_mov_b32 s56, 0
	s_and_saveexec_b32 s61, s60
	s_cbranch_execz .LBB4_432
	s_branch .LBB4_431
.LBB4_437:                              ;   in Loop: Header=BB4_434 Depth=2
	s_add_i32 s56, s56, 1
	s_mov_b32 s59, -1
                                        ; implicit-def: $vgpr3
	s_and_saveexec_b32 s61, s60
	s_cbranch_execz .LBB4_432
	s_branch .LBB4_431
.LBB4_438:                              ;   in Loop: Header=BB4_77 Depth=1
	s_or_b32 exec_lo, exec_lo, s23
	s_xor_b32 s19, s45, -1
	s_and_saveexec_b32 s23, s19
	s_xor_b32 s19, exec_lo, s23
	s_cbranch_execz .LBB4_440
; %bb.439:                              ;   in Loop: Header=BB4_77 Depth=1
	v_or_b32_e32 v55, 64, v55
	s_waitcnt vmcnt(0) lgkmcnt(0)
	s_waitcnt_vscnt null, 0x0
	ds_write_b32 v0, v3
	s_trap 2
.LBB4_440:                              ;   in Loop: Header=BB4_77 Depth=1
	s_or_b32 exec_lo, exec_lo, s19
.LBB4_441:                              ;   in Loop: Header=BB4_77 Depth=1
	s_or_b32 exec_lo, exec_lo, s22
	v_and_b32_e32 v3, 0x108, v55
	s_mov_b32 s19, exec_lo
	;;#ASMSTART
	s_wakeup
	;;#ASMEND
                                        ; implicit-def: $vgpr12_vgpr13
	v_cmpx_ne_u32_e32 0x108, v3
	s_xor_b32 s19, exec_lo, s19
; %bb.442:                              ;   in Loop: Header=BB4_77 Depth=1
	v_and_b32_e32 v12, 7, v8
	v_mov_b32_e32 v13, v1
; %bb.443:                              ;   in Loop: Header=BB4_77 Depth=1
	s_andn2_saveexec_b32 s19, s19
	s_cbranch_execz .LBB4_445
; %bb.444:                              ;   in Loop: Header=BB4_77 Depth=1
	v_and_b32_e32 v12, 7, v8
	v_ashrrev_i32_e32 v3, 31, v2
	v_mov_b32_e32 v13, v1
	v_mad_u64_u32 v[8:9], null, v12, 24, v[6:7]
	flat_store_dwordx2 v[8:9], v[2:3] offset:8
.LBB4_445:                              ;   in Loop: Header=BB4_77 Depth=1
	s_or_b32 exec_lo, exec_lo, s19
	v_and_b32_e32 v3, 0x100, v55
	s_mov_b32 s19, -1
	s_mov_b32 s22, exec_lo
                                        ; implicit-def: $vgpr8_vgpr9
	v_cmpx_ne_u32_e32 0, v3
	s_cbranch_execz .LBB4_449
; %bb.446:                              ;   in Loop: Header=BB4_77 Depth=1
	v_mad_u64_u32 v[38:39], null, v12, 24, v[6:7]
	s_mov_b32 s23, exec_lo
	v_mov_b32_e32 v3, v39
	v_mad_u64_u32 v[8:9], null, v13, 24, v[3:4]
	v_mov_b32_e32 v39, v8
                                        ; implicit-def: $vgpr8_vgpr9
	flat_load_dword v3, v[38:39]
	s_waitcnt vmcnt(0) lgkmcnt(0)
	v_cmp_ne_u32_e32 vcc_lo, 1, v3
	v_cmpx_eq_u32_e32 1, v3
	s_cbranch_execz .LBB4_448
; %bb.447:                              ;   in Loop: Header=BB4_77 Depth=1
	flat_load_dword v8, v[38:39] offset:4 glc dlc
	s_waitcnt vmcnt(0) lgkmcnt(0)
	v_ashrrev_i32_e32 v9, 31, v8
.LBB4_448:                              ;   in Loop: Header=BB4_77 Depth=1
	s_or_b32 exec_lo, exec_lo, s23
	s_orn2_b32 s19, vcc_lo, exec_lo
.LBB4_449:                              ;   in Loop: Header=BB4_77 Depth=1
	s_or_b32 exec_lo, exec_lo, s22
	s_and_saveexec_b32 s22, s19
; %bb.450:                              ;   in Loop: Header=BB4_77 Depth=1
	v_mul_lo_u32 v3, v13, v64
	v_mul_lo_u32 v13, v12, v65
	v_mad_u64_u32 v[8:9], null, v12, v64, 0
	v_add3_u32 v9, v9, v13, v3
; %bb.451:                              ;   in Loop: Header=BB4_77 Depth=1
	s_or_b32 exec_lo, exec_lo, s22
	v_cmp_eq_u32_e32 vcc_lo, 0, v48
	v_and_b32_e32 v12, 0x2000, v55
	s_mov_b32 s19, exec_lo
	v_cndmask_b32_e32 v3, 0xd0, v71, vcc_lo
	v_add_co_u32 v8, vcc_lo, v22, v8
	v_add_co_ci_u32_e64 v9, null, v23, v9, vcc_lo
	v_add_nc_u32_e32 v3, v0, v3
	ds_write_b64 v3, v[8:9] offset:584
	v_cmpx_ne_u32_e32 0, v12
	s_cbranch_execz .LBB4_453
; %bb.452:                              ;   in Loop: Header=BB4_77 Depth=1
	ds_read_b64 v[8:9], v0 offset:872
	s_waitcnt lgkmcnt(0)
	v_add_co_u32 v8, vcc_lo, v8, 1
	v_add_co_ci_u32_e64 v9, null, 0, v9, vcc_lo
	ds_write_b64 v0, v[8:9] offset:872
.LBB4_453:                              ;   in Loop: Header=BB4_77 Depth=1
	s_or_b32 exec_lo, exec_lo, s19
	v_mov_b32_e32 v8, v10
	v_mov_b32_e32 v9, v11
.LBB4_454:                              ;   in Loop: Header=BB4_77 Depth=1
	s_or_b32 exec_lo, exec_lo, s21
	s_and_saveexec_b32 s19, s7
	s_cbranch_execz .LBB4_520
; %bb.455:                              ;   in Loop: Header=BB4_77 Depth=1
	s_and_saveexec_b32 s21, s27
	s_xor_b32 s21, exec_lo, s21
	s_cbranch_execz .LBB4_517
; %bb.456:                              ;   in Loop: Header=BB4_77 Depth=1
	s_and_saveexec_b32 s22, s12
	s_cbranch_execz .LBB4_516
; %bb.457:                              ;   in Loop: Header=BB4_77 Depth=1
	s_mov_b32 s45, exec_lo
	s_mov_b32 s23, exec_lo
	v_mbcnt_lo_u32_b32 v3, s45, 0
	s_waitcnt vmcnt(0) lgkmcnt(0)
	s_waitcnt_vscnt null, 0x0
	buffer_gl1_inv
	buffer_gl0_inv
	v_cmpx_eq_u32_e32 0, v3
	s_cbranch_execz .LBB4_459
; %bb.458:                              ;   in Loop: Header=BB4_77 Depth=1
	s_bcnt1_i32_b32 s45, s45
	v_mov_b32_e32 v11, v1
	v_mov_b32_e32 v10, s45
	ds_add_u64 v0, v[10:11]
	s_trap 2
.LBB4_459:                              ;   in Loop: Header=BB4_77 Depth=1
	s_or_b32 exec_lo, exec_lo, s23
	s_trap 2
	ds_read_b64 v[10:11], v0
	s_waitcnt lgkmcnt(0)
	buffer_gl0_inv
	v_add_co_u32 v24, vcc_lo, v24, v66
	v_add_co_ci_u32_e64 v25, null, 0, v25, vcc_lo
	s_mov_b32 s23, exec_lo
	v_cmpx_lt_u64_e64 v[10:11], v[24:25]
	s_cbranch_execz .LBB4_515
; %bb.460:                              ;   in Loop: Header=BB4_77 Depth=1
	s_mov_b32 s45, 0
	s_mov_b32 s56, 0
                                        ; implicit-def: $sgpr46
                                        ; implicit-def: $sgpr47
	s_inst_prefetch 0x1
	s_branch .LBB4_462
	.p2align	6
.LBB4_461:                              ;   in Loop: Header=BB4_462 Depth=2
	s_or_b32 exec_lo, exec_lo, s58
	s_and_b32 s57, exec_lo, s59
	s_or_b32 s45, s57, s45
	s_andn2_b32 s46, s46, exec_lo
	s_and_b32 s57, s47, exec_lo
	s_or_b32 s46, s46, s57
	s_andn2_b32 exec_lo, exec_lo, s45
	s_cbranch_execz .LBB4_513
.LBB4_462:                              ;   Parent Loop BB4_77 Depth=1
                                        ; =>  This Inner Loop Header: Depth=2
	s_add_i32 s56, s56, 1
	s_cmpk_lg_i32 s56, 0x2710
	s_cselect_b32 s57, -1, 0
	s_and_b32 vcc_lo, exec_lo, s57
	s_cbranch_vccz .LBB4_464
; %bb.463:                              ;   in Loop: Header=BB4_462 Depth=2
	s_mov_b32 s59, -1
	s_or_b32 s47, s47, exec_lo
	s_and_saveexec_b32 s58, s57
	s_cbranch_execz .LBB4_461
	s_branch .LBB4_465
	.p2align	6
.LBB4_464:                              ;   in Loop: Header=BB4_462 Depth=2
	s_trap 2
	ds_read_b64 v[10:11], v0
	s_andn2_b32 s57, s57, exec_lo
	s_mov_b32 s56, 0
	s_waitcnt lgkmcnt(0)
	flat_load_dword v3, v[10:11] glc dlc
	s_waitcnt vmcnt(0) lgkmcnt(0)
	buffer_gl1_inv
	buffer_gl0_inv
	v_cmp_eq_u32_e32 vcc_lo, 0, v3
	s_and_b32 s58, vcc_lo, exec_lo
	s_or_b32 s57, s57, s58
	s_mov_b32 s59, -1
	s_or_b32 s47, s47, exec_lo
	s_and_saveexec_b32 s58, s57
	s_cbranch_execz .LBB4_461
.LBB4_465:                              ;   in Loop: Header=BB4_462 Depth=2
	s_sleep 1
	s_trap 2
	ds_read_b64 v[10:11], v0
	s_waitcnt lgkmcnt(0)
	buffer_gl0_inv
	s_andn2_b32 s47, s47, exec_lo
	v_cmp_ge_u64_e32 vcc_lo, v[10:11], v[24:25]
	s_orn2_b32 s59, vcc_lo, exec_lo
	s_branch .LBB4_461
.LBB4_466:                              ;   in Loop: Header=BB4_77 Depth=1
	s_inst_prefetch 0x2
	s_or_b32 exec_lo, exec_lo, s23
	s_and_saveexec_b32 s23, s47
	s_xor_b32 s23, exec_lo, s23
	s_cbranch_execz .LBB4_468
; %bb.467:                              ;   in Loop: Header=BB4_77 Depth=1
	ds_write_b32 v0, v70
	s_trap 2
.LBB4_468:                              ;   in Loop: Header=BB4_77 Depth=1
	s_or_b32 exec_lo, exec_lo, s22
	;;#ASMSTART
	s_wakeup
	;;#ASMEND
.LBB4_469:                              ;   in Loop: Header=BB4_77 Depth=1
	s_or_b32 exec_lo, exec_lo, s21
.LBB4_470:                              ;   in Loop: Header=BB4_77 Depth=1
	s_andn2_saveexec_b32 s20, s20
	s_cbranch_execz .LBB4_472
; %bb.471:                              ;   in Loop: Header=BB4_77 Depth=1
	;;#ASMSTART
	s_waitcnt lgkmcnt(0) vmcnt(0)
	;;#ASMEND
	s_barrier
.LBB4_472:                              ;   in Loop: Header=BB4_77 Depth=1
	s_or_b32 exec_lo, exec_lo, s20
.LBB4_473:                              ;   in Loop: Header=BB4_77 Depth=1
	s_or_b32 exec_lo, exec_lo, s19
	s_mov_b32 s19, exec_lo
	v_cmpx_ne_u32_e32 0, v2
	s_cbranch_execz .LBB4_477
; %bb.474:                              ;   in Loop: Header=BB4_77 Depth=1
	s_and_saveexec_b32 s20, s11
	s_cbranch_execz .LBB4_476
; %bb.475:                              ;   in Loop: Header=BB4_77 Depth=1
	s_waitcnt vmcnt(0) lgkmcnt(0)
	s_waitcnt_vscnt null, 0x0
	flat_store_dword v[26:27], v70
.LBB4_476:                              ;   in Loop: Header=BB4_77 Depth=1
	s_or_b32 exec_lo, exec_lo, s20
	v_add_co_u32 v8, vcc_lo, v8, 1
	v_add_co_ci_u32_e64 v9, null, 0, v9, vcc_lo
	s_waitcnt vmcnt(0) lgkmcnt(0)
	s_waitcnt_vscnt null, 0x0
	flat_store_dwordx2 v[20:21], v[8:9]
.LBB4_477:                              ;   in Loop: Header=BB4_77 Depth=1
	s_or_b32 exec_lo, exec_lo, s19
	v_mov_b32_e32 v10, v38
.LBB4_478:                              ;   in Loop: Header=BB4_77 Depth=1
	s_or_b32 exec_lo, exec_lo, s46
	s_mov_b32 s19, 0
	s_mov_b32 s21, s43
	s_and_saveexec_b32 s20, s17
	s_cbranch_execz .LBB4_618
; %bb.479:                              ;   in Loop: Header=BB4_77 Depth=1
	v_sub_nc_u32_e32 v2, v103, v10
	v_and_b32_e32 v3, 8, v55
	s_mov_b32 s21, exec_lo
	v_min_i32_e32 v2, v38, v2
	v_cmpx_ne_u32_e32 0, v3
	s_cbranch_execz .LBB4_501
; %bb.480:                              ;   in Loop: Header=BB4_77 Depth=1
	s_waitcnt vmcnt(0) lgkmcnt(1)
	v_add_co_u32 v12, vcc_lo, v28, 8
	v_add_co_ci_u32_e64 v13, null, 0, v29, vcc_lo
	v_add_co_u32 v10, vcc_lo, v8, 1
	v_add_co_ci_u32_e64 v11, null, 0, v9, vcc_lo
	s_mov_b32 s22, exec_lo
	v_cmpx_lt_u64_e64 v[12:13], v[10:11]
	s_cbranch_execz .LBB4_492
; %bb.481:                              ;   in Loop: Header=BB4_77 Depth=1
	v_and_b32_e32 v3, 64, v55
	s_mov_b32 s23, 0
	s_mov_b32 s57, 0
                                        ; implicit-def: $sgpr46
                                        ; implicit-def: $sgpr47
                                        ; implicit-def: $sgpr56
	v_cmp_eq_u32_e32 vcc_lo, 0, v3
	s_branch .LBB4_485
.LBB4_482:                              ;   in Loop: Header=BB4_485 Depth=2
	s_waitcnt vmcnt(0) lgkmcnt(0)
	v_add_co_u32 v12, s19, v28, 8
	v_add_co_ci_u32_e64 v13, null, 0, v29, s19
	s_or_b32 s60, s60, exec_lo
	v_cmp_ge_u64_e64 s19, v[12:13], v[10:11]
	s_orn2_b32 s59, s19, exec_lo
.LBB4_483:                              ;   in Loop: Header=BB4_485 Depth=2
	s_or_b32 exec_lo, exec_lo, s62
	s_andn2_b32 s19, s56, exec_lo
	s_and_b32 s56, s60, exec_lo
	s_andn2_b32 s47, s47, exec_lo
	s_and_b32 s59, s59, exec_lo
	s_or_b32 s56, s19, s56
	s_or_b32 s47, s47, s59
.LBB4_484:                              ;   in Loop: Header=BB4_485 Depth=2
	s_or_b32 exec_lo, exec_lo, s58
	s_and_b32 s19, exec_lo, s47
	s_or_b32 s23, s19, s23
	s_andn2_b32 s19, s46, exec_lo
	s_and_b32 s46, s56, exec_lo
	s_or_b32 s46, s19, s46
	s_andn2_b32 exec_lo, exec_lo, s23
	s_cbranch_execz .LBB4_489
.LBB4_485:                              ;   Parent Loop BB4_77 Depth=1
                                        ; =>  This Inner Loop Header: Depth=2
	s_sleep 1
	s_waitcnt vmcnt(0) lgkmcnt(0)
	flat_load_dwordx2 v[28:29], v[20:21] glc dlc
	s_or_b32 s56, s56, exec_lo
	s_or_b32 s47, s47, exec_lo
                                        ; implicit-def: $vgpr3
	s_and_saveexec_b32 s58, vcc_lo
	s_cbranch_execz .LBB4_484
; %bb.486:                              ;   in Loop: Header=BB4_485 Depth=2
	s_cmpk_lt_i32 s57, 0x270f
	s_mov_b32 s59, -1
	s_cselect_b32 s61, -1, 0
	s_cmpk_gt_i32 s57, 0x270e
	s_cbranch_scc0 .LBB4_488
; %bb.487:                              ;   in Loop: Header=BB4_485 Depth=2
	s_trap 2
	ds_read_b64 v[12:13], v0
	s_andn2_b32 s57, s61, exec_lo
	s_mov_b32 s60, 0
	s_waitcnt vmcnt(0) lgkmcnt(0)
	s_waitcnt_vscnt null, 0x0
	flat_load_dword v3, v[12:13] glc dlc
	s_waitcnt vmcnt(0) lgkmcnt(0)
	buffer_gl1_inv
	buffer_gl0_inv
	v_cmp_eq_u32_e64 s19, 0, v3
	s_and_b32 s19, s19, exec_lo
	s_or_b32 s61, s57, s19
	s_mov_b32 s57, 0
	s_and_saveexec_b32 s62, s61
	s_cbranch_execz .LBB4_483
	s_branch .LBB4_482
.LBB4_488:                              ;   in Loop: Header=BB4_485 Depth=2
	s_add_i32 s57, s57, 1
	s_mov_b32 s60, -1
                                        ; implicit-def: $vgpr3
	s_and_saveexec_b32 s62, s61
	s_cbranch_execz .LBB4_483
	s_branch .LBB4_482
.LBB4_489:                              ;   in Loop: Header=BB4_77 Depth=1
	s_or_b32 exec_lo, exec_lo, s23
	s_xor_b32 s19, s46, -1
	s_and_saveexec_b32 s23, s19
	s_xor_b32 s19, exec_lo, s23
	s_cbranch_execz .LBB4_491
; %bb.490:                              ;   in Loop: Header=BB4_77 Depth=1
	v_or_b32_e32 v55, 64, v55
	s_waitcnt vmcnt(0) lgkmcnt(0)
	s_waitcnt_vscnt null, 0x0
	ds_write_b32 v0, v3
	s_trap 2
.LBB4_491:                              ;   in Loop: Header=BB4_77 Depth=1
	s_or_b32 exec_lo, exec_lo, s19
.LBB4_492:                              ;   in Loop: Header=BB4_77 Depth=1
	s_or_b32 exec_lo, exec_lo, s22
	v_and_b32_e32 v3, 0x100, v55
	v_and_b32_e32 v38, 7, v8
	s_mov_b32 s19, -1
	s_mov_b32 s22, exec_lo
	;;#ASMSTART
	s_wakeup
	;;#ASMEND
                                        ; implicit-def: $vgpr8_vgpr9
	v_cmpx_ne_u32_e32 0, v3
	s_cbranch_execz .LBB4_496
; %bb.493:                              ;   in Loop: Header=BB4_77 Depth=1
	v_mad_u64_u32 v[12:13], null, v38, 24, v[6:7]
	v_ashrrev_i32_e32 v3, 31, v2
	flat_load_dword v8, v[12:13]
	flat_store_dwordx2 v[12:13], v[2:3] offset:8
	s_waitcnt vmcnt(0) lgkmcnt(1)
	v_cmp_eq_u32_e64 s19, 1, v8
	v_cmp_ne_u32_e32 vcc_lo, 1, v8
                                        ; implicit-def: $vgpr8_vgpr9
	s_and_saveexec_b32 s23, s19
	s_cbranch_execz .LBB4_495
; %bb.494:                              ;   in Loop: Header=BB4_77 Depth=1
	flat_load_dword v8, v[12:13] offset:4 glc dlc
	s_waitcnt vmcnt(0) lgkmcnt(0)
	v_ashrrev_i32_e32 v9, 31, v8
.LBB4_495:                              ;   in Loop: Header=BB4_77 Depth=1
	s_or_b32 exec_lo, exec_lo, s23
	s_orn2_b32 s19, vcc_lo, exec_lo
.LBB4_496:                              ;   in Loop: Header=BB4_77 Depth=1
	s_or_b32 exec_lo, exec_lo, s22
	s_and_saveexec_b32 s22, s19
; %bb.497:                              ;   in Loop: Header=BB4_77 Depth=1
	v_mad_i64_i32 v[8:9], null, v38, v64, 0
; %bb.498:                              ;   in Loop: Header=BB4_77 Depth=1
	s_or_b32 exec_lo, exec_lo, s22
	v_add_co_u32 v8, vcc_lo, v22, v8
	v_and_b32_e32 v3, 0x2000, v55
	v_add_co_ci_u32_e64 v9, null, v23, v9, vcc_lo
	s_mov_b32 s19, exec_lo
	ds_write_b64 v0, v[8:9] offset:792
	v_cmpx_ne_u32_e32 0, v3
	s_cbranch_execz .LBB4_500
; %bb.499:                              ;   in Loop: Header=BB4_77 Depth=1
	ds_read_b64 v[8:9], v0 offset:872
	s_waitcnt lgkmcnt(0)
	v_add_co_u32 v8, vcc_lo, v8, 1
	v_add_co_ci_u32_e64 v9, null, 0, v9, vcc_lo
	ds_write_b64 v0, v[8:9] offset:872
.LBB4_500:                              ;   in Loop: Header=BB4_77 Depth=1
	s_or_b32 exec_lo, exec_lo, s19
	v_mov_b32_e32 v8, v10
	v_mov_b32_e32 v9, v11
.LBB4_501:                              ;   in Loop: Header=BB4_77 Depth=1
	s_or_b32 exec_lo, exec_lo, s21
	s_and_saveexec_b32 s19, s7
	s_cbranch_execz .LBB4_543
; %bb.502:                              ;   in Loop: Header=BB4_77 Depth=1
	s_and_saveexec_b32 s21, s27
	s_xor_b32 s21, exec_lo, s21
	s_cbranch_execz .LBB4_540
; %bb.503:                              ;   in Loop: Header=BB4_77 Depth=1
	s_and_saveexec_b32 s22, s12
	s_cbranch_execz .LBB4_539
; %bb.504:                              ;   in Loop: Header=BB4_77 Depth=1
	s_mov_b32 s46, exec_lo
	s_mov_b32 s23, exec_lo
	v_mbcnt_lo_u32_b32 v3, s46, 0
	s_waitcnt vmcnt(0) lgkmcnt(0)
	s_waitcnt_vscnt null, 0x0
	buffer_gl1_inv
	buffer_gl0_inv
	v_cmpx_eq_u32_e32 0, v3
	s_cbranch_execz .LBB4_506
; %bb.505:                              ;   in Loop: Header=BB4_77 Depth=1
	s_bcnt1_i32_b32 s46, s46
	v_mov_b32_e32 v11, v1
	v_mov_b32_e32 v10, s46
	ds_add_u64 v0, v[10:11]
	s_trap 2
.LBB4_506:                              ;   in Loop: Header=BB4_77 Depth=1
	s_or_b32 exec_lo, exec_lo, s23
	s_trap 2
	ds_read_b64 v[10:11], v0
	s_waitcnt lgkmcnt(0)
	buffer_gl0_inv
	v_add_co_u32 v24, vcc_lo, v24, v66
	v_add_co_ci_u32_e64 v25, null, 0, v25, vcc_lo
	s_mov_b32 s23, exec_lo
	v_cmpx_lt_u64_e64 v[10:11], v[24:25]
	s_cbranch_execz .LBB4_538
; %bb.507:                              ;   in Loop: Header=BB4_77 Depth=1
	s_mov_b32 s46, 0
	s_mov_b32 s57, 0
                                        ; implicit-def: $sgpr47
                                        ; implicit-def: $sgpr56
	s_inst_prefetch 0x1
	s_branch .LBB4_509
	.p2align	6
.LBB4_508:                              ;   in Loop: Header=BB4_509 Depth=2
	s_or_b32 exec_lo, exec_lo, s59
	s_and_b32 s58, exec_lo, s60
	s_or_b32 s46, s58, s46
	s_andn2_b32 s47, s47, exec_lo
	s_and_b32 s58, s56, exec_lo
	s_or_b32 s47, s47, s58
	s_andn2_b32 exec_lo, exec_lo, s46
	s_cbranch_execz .LBB4_536
.LBB4_509:                              ;   Parent Loop BB4_77 Depth=1
                                        ; =>  This Inner Loop Header: Depth=2
	s_add_i32 s57, s57, 1
	s_cmpk_lg_i32 s57, 0x2710
	s_cselect_b32 s58, -1, 0
	s_and_b32 vcc_lo, exec_lo, s58
	s_cbranch_vccz .LBB4_511
; %bb.510:                              ;   in Loop: Header=BB4_509 Depth=2
	s_mov_b32 s60, -1
	s_or_b32 s56, s56, exec_lo
	s_and_saveexec_b32 s59, s58
	s_cbranch_execz .LBB4_508
	s_branch .LBB4_512
	.p2align	6
.LBB4_511:                              ;   in Loop: Header=BB4_509 Depth=2
	s_trap 2
	ds_read_b64 v[10:11], v0
	s_andn2_b32 s58, s58, exec_lo
	s_mov_b32 s57, 0
	s_waitcnt lgkmcnt(0)
	flat_load_dword v3, v[10:11] glc dlc
	s_waitcnt vmcnt(0) lgkmcnt(0)
	buffer_gl1_inv
	buffer_gl0_inv
	v_cmp_eq_u32_e32 vcc_lo, 0, v3
	s_and_b32 s59, vcc_lo, exec_lo
	s_or_b32 s58, s58, s59
	s_mov_b32 s60, -1
	s_or_b32 s56, s56, exec_lo
	s_and_saveexec_b32 s59, s58
	s_cbranch_execz .LBB4_508
.LBB4_512:                              ;   in Loop: Header=BB4_509 Depth=2
	s_sleep 1
	s_trap 2
	ds_read_b64 v[10:11], v0
	s_waitcnt lgkmcnt(0)
	buffer_gl0_inv
	s_andn2_b32 s56, s56, exec_lo
	v_cmp_ge_u64_e32 vcc_lo, v[10:11], v[24:25]
	s_orn2_b32 s60, vcc_lo, exec_lo
	s_branch .LBB4_508
.LBB4_513:                              ;   in Loop: Header=BB4_77 Depth=1
	s_inst_prefetch 0x2
	s_or_b32 exec_lo, exec_lo, s45
	s_and_saveexec_b32 s45, s46
	s_xor_b32 s45, exec_lo, s45
	s_cbranch_execz .LBB4_515
; %bb.514:                              ;   in Loop: Header=BB4_77 Depth=1
	ds_write_b32 v0, v70
	s_trap 2
.LBB4_515:                              ;   in Loop: Header=BB4_77 Depth=1
	s_or_b32 exec_lo, exec_lo, s23
	;;#ASMSTART
	s_wakeup
	;;#ASMEND
.LBB4_516:                              ;   in Loop: Header=BB4_77 Depth=1
	s_or_b32 exec_lo, exec_lo, s22
.LBB4_517:                              ;   in Loop: Header=BB4_77 Depth=1
	s_andn2_saveexec_b32 s21, s21
	s_cbranch_execz .LBB4_519
; %bb.518:                              ;   in Loop: Header=BB4_77 Depth=1
	s_waitcnt vmcnt(0) lgkmcnt(0)
	s_waitcnt_vscnt null, 0x0
	buffer_gl1_inv
	buffer_gl0_inv
	s_barrier
.LBB4_519:                              ;   in Loop: Header=BB4_77 Depth=1
	s_or_b32 exec_lo, exec_lo, s21
.LBB4_520:                              ;   in Loop: Header=BB4_77 Depth=1
	s_or_b32 exec_lo, exec_lo, s19
	v_and_b32_e32 v3, 16, v55
	s_and_saveexec_b32 s19, s14
	s_xor_b32 s21, exec_lo, s19
	s_cbranch_execz .LBB4_524
; %bb.521:                              ;   in Loop: Header=BB4_77 Depth=1
	s_trap 2
	ds_read_b32 v3, v0
	v_cmp_lt_i32_e32 vcc_lo, 0, v2
	s_waitcnt lgkmcnt(0)
	v_readfirstlane_b32 s19, v3
	v_and_b32_e32 v3, 16, v55
	s_cmp_eq_u32 s19, 0
	v_cmp_ne_u32_e64 s19, 0, v3
	s_cselect_b32 s22, -1, 0
	v_and_b32_e32 v3, 16, v55
	s_and_b32 s22, vcc_lo, s22
	s_and_b32 s22, s19, s22
	s_and_saveexec_b32 s19, s22
	s_cbranch_execz .LBB4_523
; %bb.522:                              ;   in Loop: Header=BB4_77 Depth=1
	v_mov_b32_e32 v3, 1
	s_waitcnt vmcnt(0)
	s_waitcnt_vscnt null, 0x0
	buffer_gl1_inv
	buffer_gl0_inv
.LBB4_523:                              ;   in Loop: Header=BB4_77 Depth=1
	s_or_b32 exec_lo, exec_lo, s19
.LBB4_524:                              ;   in Loop: Header=BB4_77 Depth=1
	s_andn2_saveexec_b32 s19, s21
	s_cbranch_execz .LBB4_566
; %bb.525:                              ;   in Loop: Header=BB4_77 Depth=1
	s_and_saveexec_b32 s21, s27
	s_xor_b32 s21, exec_lo, s21
	s_cbranch_execz .LBB4_563
; %bb.526:                              ;   in Loop: Header=BB4_77 Depth=1
	s_and_saveexec_b32 s22, s12
	s_cbranch_execz .LBB4_562
; %bb.527:                              ;   in Loop: Header=BB4_77 Depth=1
	s_mov_b32 s45, exec_lo
	s_mov_b32 s23, exec_lo
	v_mbcnt_lo_u32_b32 v2, s45, 0
	;;#ASMSTART
	s_waitcnt lgkmcnt(0) vmcnt(0)
	;;#ASMEND
	v_cmpx_eq_u32_e32 0, v2
	s_cbranch_execz .LBB4_529
; %bb.528:                              ;   in Loop: Header=BB4_77 Depth=1
	s_bcnt1_i32_b32 s45, s45
	v_mov_b32_e32 v11, v1
	v_mov_b32_e32 v10, s45
	s_waitcnt vmcnt(0) lgkmcnt(0)
	s_waitcnt_vscnt null, 0x0
	ds_add_u64 v0, v[10:11]
	s_trap 2
.LBB4_529:                              ;   in Loop: Header=BB4_77 Depth=1
	s_or_b32 exec_lo, exec_lo, s23
	s_trap 2
	ds_read_b64 v[10:11], v0
	s_waitcnt vmcnt(0) lgkmcnt(0)
	buffer_gl0_inv
	v_add_co_u32 v24, vcc_lo, v24, v66
	v_add_co_ci_u32_e64 v25, null, 0, v25, vcc_lo
	s_mov_b32 s23, exec_lo
	v_cmpx_lt_u64_e64 v[10:11], v[24:25]
	s_cbranch_execz .LBB4_561
; %bb.530:                              ;   in Loop: Header=BB4_77 Depth=1
	s_mov_b32 s45, 0
	s_mov_b32 s56, 0
                                        ; implicit-def: $sgpr46
                                        ; implicit-def: $sgpr47
	s_inst_prefetch 0x1
	s_branch .LBB4_532
	.p2align	6
.LBB4_531:                              ;   in Loop: Header=BB4_532 Depth=2
	s_or_b32 exec_lo, exec_lo, s58
	s_and_b32 s57, exec_lo, s59
	s_or_b32 s45, s57, s45
	s_andn2_b32 s46, s46, exec_lo
	s_and_b32 s57, s47, exec_lo
	s_or_b32 s46, s46, s57
	s_andn2_b32 exec_lo, exec_lo, s45
	s_cbranch_execz .LBB4_559
.LBB4_532:                              ;   Parent Loop BB4_77 Depth=1
                                        ; =>  This Inner Loop Header: Depth=2
	s_add_i32 s56, s56, 1
	s_cmpk_lg_i32 s56, 0x2710
	s_cselect_b32 s57, -1, 0
	s_and_b32 vcc_lo, exec_lo, s57
	s_cbranch_vccz .LBB4_534
; %bb.533:                              ;   in Loop: Header=BB4_532 Depth=2
	s_mov_b32 s59, -1
	s_or_b32 s47, s47, exec_lo
	s_and_saveexec_b32 s58, s57
	s_cbranch_execz .LBB4_531
	s_branch .LBB4_535
	.p2align	6
.LBB4_534:                              ;   in Loop: Header=BB4_532 Depth=2
	s_trap 2
	ds_read_b64 v[10:11], v0
	s_andn2_b32 s57, s57, exec_lo
	s_mov_b32 s56, 0
	s_waitcnt lgkmcnt(0)
	s_waitcnt_vscnt null, 0x0
	flat_load_dword v2, v[10:11] glc dlc
	s_waitcnt vmcnt(0) lgkmcnt(0)
	buffer_gl1_inv
	buffer_gl0_inv
	v_cmp_eq_u32_e32 vcc_lo, 0, v2
	s_and_b32 s58, vcc_lo, exec_lo
	s_or_b32 s57, s57, s58
	s_mov_b32 s59, -1
	s_or_b32 s47, s47, exec_lo
	s_and_saveexec_b32 s58, s57
	s_cbranch_execz .LBB4_531
.LBB4_535:                              ;   in Loop: Header=BB4_532 Depth=2
	s_sleep 1
	s_trap 2
	ds_read_b64 v[10:11], v0
	s_waitcnt lgkmcnt(0)
	buffer_gl0_inv
	s_andn2_b32 s47, s47, exec_lo
	v_cmp_ge_u64_e32 vcc_lo, v[10:11], v[24:25]
	s_orn2_b32 s59, vcc_lo, exec_lo
	s_branch .LBB4_531
.LBB4_536:                              ;   in Loop: Header=BB4_77 Depth=1
	s_inst_prefetch 0x2
	s_or_b32 exec_lo, exec_lo, s46
	s_and_saveexec_b32 s46, s47
	s_xor_b32 s46, exec_lo, s46
	s_cbranch_execz .LBB4_538
; %bb.537:                              ;   in Loop: Header=BB4_77 Depth=1
	ds_write_b32 v0, v70
	s_trap 2
.LBB4_538:                              ;   in Loop: Header=BB4_77 Depth=1
	s_or_b32 exec_lo, exec_lo, s23
	;;#ASMSTART
	s_wakeup
	;;#ASMEND
.LBB4_539:                              ;   in Loop: Header=BB4_77 Depth=1
	s_or_b32 exec_lo, exec_lo, s22
.LBB4_540:                              ;   in Loop: Header=BB4_77 Depth=1
	s_andn2_saveexec_b32 s21, s21
	s_cbranch_execz .LBB4_542
; %bb.541:                              ;   in Loop: Header=BB4_77 Depth=1
	s_waitcnt vmcnt(0) lgkmcnt(0)
	s_waitcnt_vscnt null, 0x0
	buffer_gl1_inv
	buffer_gl0_inv
	s_barrier
.LBB4_542:                              ;   in Loop: Header=BB4_77 Depth=1
	s_or_b32 exec_lo, exec_lo, s21
.LBB4_543:                              ;   in Loop: Header=BB4_77 Depth=1
	s_or_b32 exec_lo, exec_lo, s19
	v_and_b32_e32 v3, 16, v55
	s_and_saveexec_b32 s19, s14
	s_xor_b32 s21, exec_lo, s19
	s_cbranch_execz .LBB4_547
; %bb.544:                              ;   in Loop: Header=BB4_77 Depth=1
	s_trap 2
	ds_read_b32 v3, v0
	v_cmp_lt_i32_e32 vcc_lo, 0, v2
	s_waitcnt lgkmcnt(0)
	v_readfirstlane_b32 s19, v3
	v_and_b32_e32 v3, 16, v55
	s_cmp_eq_u32 s19, 0
	v_cmp_ne_u32_e64 s19, 0, v3
	s_cselect_b32 s22, -1, 0
	v_and_b32_e32 v3, 16, v55
	s_and_b32 s22, vcc_lo, s22
	s_and_b32 s22, s19, s22
	s_and_saveexec_b32 s19, s22
	s_cbranch_execz .LBB4_546
; %bb.545:                              ;   in Loop: Header=BB4_77 Depth=1
	v_mov_b32_e32 v3, 1
	s_waitcnt vmcnt(0)
	s_waitcnt_vscnt null, 0x0
	buffer_gl1_inv
	buffer_gl0_inv
.LBB4_546:                              ;   in Loop: Header=BB4_77 Depth=1
	s_or_b32 exec_lo, exec_lo, s19
.LBB4_547:                              ;   in Loop: Header=BB4_77 Depth=1
	s_andn2_saveexec_b32 s19, s21
	s_cbranch_execz .LBB4_615
; %bb.548:                              ;   in Loop: Header=BB4_77 Depth=1
	s_and_saveexec_b32 s21, s27
	s_xor_b32 s21, exec_lo, s21
	s_cbranch_execz .LBB4_612
; %bb.549:                              ;   in Loop: Header=BB4_77 Depth=1
	s_and_saveexec_b32 s22, s12
	s_cbranch_execz .LBB4_611
; %bb.550:                              ;   in Loop: Header=BB4_77 Depth=1
	s_mov_b32 s46, exec_lo
	s_mov_b32 s23, exec_lo
	v_mbcnt_lo_u32_b32 v2, s46, 0
	;;#ASMSTART
	s_waitcnt lgkmcnt(0) vmcnt(0)
	;;#ASMEND
	v_cmpx_eq_u32_e32 0, v2
	s_cbranch_execz .LBB4_552
; %bb.551:                              ;   in Loop: Header=BB4_77 Depth=1
	s_bcnt1_i32_b32 s46, s46
	v_mov_b32_e32 v11, v1
	v_mov_b32_e32 v10, s46
	s_waitcnt vmcnt(0) lgkmcnt(0)
	s_waitcnt_vscnt null, 0x0
	ds_add_u64 v0, v[10:11]
	s_trap 2
.LBB4_552:                              ;   in Loop: Header=BB4_77 Depth=1
	s_or_b32 exec_lo, exec_lo, s23
	s_trap 2
	ds_read_b64 v[10:11], v0
	s_waitcnt vmcnt(0) lgkmcnt(0)
	buffer_gl0_inv
	v_add_co_u32 v24, vcc_lo, v24, v66
	v_add_co_ci_u32_e64 v25, null, 0, v25, vcc_lo
	s_mov_b32 s23, exec_lo
	v_cmpx_lt_u64_e64 v[10:11], v[24:25]
	s_cbranch_execz .LBB4_610
; %bb.553:                              ;   in Loop: Header=BB4_77 Depth=1
	s_mov_b32 s46, 0
	s_mov_b32 s57, 0
                                        ; implicit-def: $sgpr47
                                        ; implicit-def: $sgpr56
	s_inst_prefetch 0x1
	s_branch .LBB4_555
	.p2align	6
.LBB4_554:                              ;   in Loop: Header=BB4_555 Depth=2
	s_or_b32 exec_lo, exec_lo, s59
	s_and_b32 s58, exec_lo, s60
	s_or_b32 s46, s58, s46
	s_andn2_b32 s47, s47, exec_lo
	s_and_b32 s58, s56, exec_lo
	s_or_b32 s47, s47, s58
	s_andn2_b32 exec_lo, exec_lo, s46
	s_cbranch_execz .LBB4_608
.LBB4_555:                              ;   Parent Loop BB4_77 Depth=1
                                        ; =>  This Inner Loop Header: Depth=2
	s_add_i32 s57, s57, 1
	s_cmpk_lg_i32 s57, 0x2710
	s_cselect_b32 s58, -1, 0
	s_and_b32 vcc_lo, exec_lo, s58
	s_cbranch_vccz .LBB4_557
; %bb.556:                              ;   in Loop: Header=BB4_555 Depth=2
	s_mov_b32 s60, -1
	s_or_b32 s56, s56, exec_lo
	s_and_saveexec_b32 s59, s58
	s_cbranch_execz .LBB4_554
	s_branch .LBB4_558
	.p2align	6
.LBB4_557:                              ;   in Loop: Header=BB4_555 Depth=2
	s_trap 2
	ds_read_b64 v[10:11], v0
	s_andn2_b32 s58, s58, exec_lo
	s_mov_b32 s57, 0
	s_waitcnt lgkmcnt(0)
	s_waitcnt_vscnt null, 0x0
	flat_load_dword v2, v[10:11] glc dlc
	s_waitcnt vmcnt(0) lgkmcnt(0)
	buffer_gl1_inv
	buffer_gl0_inv
	v_cmp_eq_u32_e32 vcc_lo, 0, v2
	s_and_b32 s59, vcc_lo, exec_lo
	s_or_b32 s58, s58, s59
	s_mov_b32 s60, -1
	s_or_b32 s56, s56, exec_lo
	s_and_saveexec_b32 s59, s58
	s_cbranch_execz .LBB4_554
.LBB4_558:                              ;   in Loop: Header=BB4_555 Depth=2
	s_sleep 1
	s_trap 2
	ds_read_b64 v[10:11], v0
	s_waitcnt lgkmcnt(0)
	buffer_gl0_inv
	s_andn2_b32 s56, s56, exec_lo
	v_cmp_ge_u64_e32 vcc_lo, v[10:11], v[24:25]
	s_orn2_b32 s60, vcc_lo, exec_lo
	s_branch .LBB4_554
.LBB4_559:                              ;   in Loop: Header=BB4_77 Depth=1
	s_inst_prefetch 0x2
	s_or_b32 exec_lo, exec_lo, s45
	s_and_saveexec_b32 s45, s46
	s_xor_b32 s45, exec_lo, s45
	s_cbranch_execz .LBB4_561
; %bb.560:                              ;   in Loop: Header=BB4_77 Depth=1
	ds_write_b32 v0, v70
	s_trap 2
.LBB4_561:                              ;   in Loop: Header=BB4_77 Depth=1
	s_or_b32 exec_lo, exec_lo, s23
	;;#ASMSTART
	s_wakeup
	;;#ASMEND
.LBB4_562:                              ;   in Loop: Header=BB4_77 Depth=1
	s_or_b32 exec_lo, exec_lo, s22
.LBB4_563:                              ;   in Loop: Header=BB4_77 Depth=1
	s_andn2_saveexec_b32 s21, s21
	s_cbranch_execz .LBB4_565
; %bb.564:                              ;   in Loop: Header=BB4_77 Depth=1
	;;#ASMSTART
	s_waitcnt lgkmcnt(0) vmcnt(0)
	;;#ASMEND
	s_barrier
.LBB4_565:                              ;   in Loop: Header=BB4_77 Depth=1
	s_or_b32 exec_lo, exec_lo, s21
.LBB4_566:                              ;   in Loop: Header=BB4_77 Depth=1
	s_or_b32 exec_lo, exec_lo, s19
	v_cmp_ne_u32_e32 vcc_lo, 0, v3
	s_xor_b32 s19, s10, -1
	s_and_b32 s21, vcc_lo, s19
	s_and_saveexec_b32 s19, s21
	s_cbranch_execz .LBB4_568
; %bb.567:                              ;   in Loop: Header=BB4_77 Depth=1
	s_waitcnt vmcnt(0) lgkmcnt(0)
	s_waitcnt_vscnt null, 0x0
	flat_store_dword v[26:27], v70
.LBB4_568:                              ;   in Loop: Header=BB4_77 Depth=1
	s_or_b32 exec_lo, exec_lo, s19
	v_and_b32_e32 v2, 48, v55
	v_cmp_ne_u32_e32 vcc_lo, 0, v2
	s_and_b32 s19, vcc_lo, exec_lo
.LBB4_569:                              ;   in Loop: Header=BB4_77 Depth=1
	s_or_b32 exec_lo, exec_lo, s20
	s_and_b32 s21, s19, exec_lo
                                        ; implicit-def: $vgpr38
                                        ; implicit-def: $vgpr103
                                        ; implicit-def: $vgpr2
                                        ; implicit-def: $vgpr3
.LBB4_570:                              ;   in Loop: Header=BB4_77 Depth=1
	s_andn2_saveexec_b32 s22, s43
	s_cbranch_execz .LBB4_1000
; %bb.571:                              ;   in Loop: Header=BB4_77 Depth=1
	v_mov_b32_e32 v12, 0
	s_and_saveexec_b32 s23, s18
	s_cbranch_execz .LBB4_849
; %bb.572:                              ;   in Loop: Header=BB4_77 Depth=1
	s_and_saveexec_b32 s20, s4
	s_cbranch_execz .LBB4_574
; %bb.573:                              ;   in Loop: Header=BB4_77 Depth=1
	s_trap 2
	ds_read_b128 v[10:13], v0
	s_waitcnt lgkmcnt(0)
	v_add_co_u32 v39, vcc_lo, v12, v2
	v_add_co_ci_u32_e64 v48, null, v13, v3, vcc_lo
	v_cmp_ne_u64_e32 vcc_lo, 0, v[12:13]
	v_add_co_u32 v2, s19, v10, v2
	v_add_co_ci_u32_e64 v3, null, v11, v3, s19
	v_cndmask_b32_e32 v11, 0, v48, vcc_lo
	v_cndmask_b32_e32 v10, 0, v39, vcc_lo
	ds_write_b64 v0, v[2:3]
	ds_write_b64 v0, v[10:11]
.LBB4_574:                              ;   in Loop: Header=BB4_77 Depth=1
	s_or_b32 exec_lo, exec_lo, s20
	v_and_b32_e32 v2, 4, v55
	s_mov_b32 s20, exec_lo
	v_cmpx_ne_u32_e32 0, v2
	s_cbranch_execz .LBB4_596
; %bb.575:                              ;   in Loop: Header=BB4_77 Depth=1
	v_add_co_u32 v2, vcc_lo, v8, 1
	v_add_co_ci_u32_e64 v3, null, 0, v9, vcc_lo
	s_mov_b32 s43, exec_lo
	s_waitcnt vmcnt(0) lgkmcnt(1)
	v_cmpx_lt_u64_e64 v[28:29], v[2:3]
	s_cbranch_execz .LBB4_587
; %bb.576:                              ;   in Loop: Header=BB4_77 Depth=1
	v_and_b32_e32 v9, 64, v55
	s_mov_b32 s45, 0
	s_mov_b32 s57, 0
                                        ; implicit-def: $sgpr46
                                        ; implicit-def: $sgpr47
                                        ; implicit-def: $sgpr56
	v_cmp_eq_u32_e32 vcc_lo, 0, v9
	s_branch .LBB4_580
.LBB4_577:                              ;   in Loop: Header=BB4_580 Depth=2
	s_waitcnt vmcnt(0) lgkmcnt(0)
	v_cmp_ge_u64_e64 s19, v[28:29], v[2:3]
	s_or_b32 s60, s60, exec_lo
	s_orn2_b32 s59, s19, exec_lo
.LBB4_578:                              ;   in Loop: Header=BB4_580 Depth=2
	s_or_b32 exec_lo, exec_lo, s62
	s_andn2_b32 s19, s56, exec_lo
	s_and_b32 s56, s60, exec_lo
	s_andn2_b32 s47, s47, exec_lo
	s_and_b32 s59, s59, exec_lo
	s_or_b32 s56, s19, s56
	s_or_b32 s47, s47, s59
.LBB4_579:                              ;   in Loop: Header=BB4_580 Depth=2
	s_or_b32 exec_lo, exec_lo, s58
	s_and_b32 s19, exec_lo, s47
	s_or_b32 s45, s19, s45
	s_andn2_b32 s19, s46, exec_lo
	s_and_b32 s46, s56, exec_lo
	s_or_b32 s46, s19, s46
	s_andn2_b32 exec_lo, exec_lo, s45
	s_cbranch_execz .LBB4_584
.LBB4_580:                              ;   Parent Loop BB4_77 Depth=1
                                        ; =>  This Inner Loop Header: Depth=2
	s_sleep 1
	s_waitcnt vmcnt(0) lgkmcnt(0)
	flat_load_dwordx2 v[28:29], v[20:21] glc dlc
	s_or_b32 s56, s56, exec_lo
	s_or_b32 s47, s47, exec_lo
                                        ; implicit-def: $vgpr9
	s_and_saveexec_b32 s58, vcc_lo
	s_cbranch_execz .LBB4_579
; %bb.581:                              ;   in Loop: Header=BB4_580 Depth=2
	s_cmpk_lt_i32 s57, 0x270f
	s_mov_b32 s59, -1
	s_cselect_b32 s61, -1, 0
	s_cmpk_gt_i32 s57, 0x270e
	s_cbranch_scc0 .LBB4_583
; %bb.582:                              ;   in Loop: Header=BB4_580 Depth=2
	s_trap 2
	ds_read_b64 v[9:10], v0
	s_andn2_b32 s57, s61, exec_lo
	s_mov_b32 s60, 0
	s_waitcnt vmcnt(0) lgkmcnt(0)
	s_waitcnt_vscnt null, 0x0
	flat_load_dword v9, v[9:10] glc dlc
	s_waitcnt vmcnt(0) lgkmcnt(0)
	buffer_gl1_inv
	buffer_gl0_inv
	v_cmp_eq_u32_e64 s19, 0, v9
	s_and_b32 s19, s19, exec_lo
	s_or_b32 s61, s57, s19
	s_mov_b32 s57, 0
	s_and_saveexec_b32 s62, s61
	s_cbranch_execz .LBB4_578
	s_branch .LBB4_577
.LBB4_583:                              ;   in Loop: Header=BB4_580 Depth=2
	s_add_i32 s57, s57, 1
	s_mov_b32 s60, -1
                                        ; implicit-def: $vgpr9
	s_and_saveexec_b32 s62, s61
	s_cbranch_execz .LBB4_578
	s_branch .LBB4_577
.LBB4_584:                              ;   in Loop: Header=BB4_77 Depth=1
	s_or_b32 exec_lo, exec_lo, s45
	s_xor_b32 s19, s46, -1
	s_and_saveexec_b32 s45, s19
	s_xor_b32 s19, exec_lo, s45
	s_cbranch_execz .LBB4_586
; %bb.585:                              ;   in Loop: Header=BB4_77 Depth=1
	v_or_b32_e32 v55, 64, v55
	s_waitcnt vmcnt(0) lgkmcnt(0)
	s_waitcnt_vscnt null, 0x0
	ds_write_b32 v0, v9
	s_trap 2
.LBB4_586:                              ;   in Loop: Header=BB4_77 Depth=1
	s_or_b32 exec_lo, exec_lo, s19
.LBB4_587:                              ;   in Loop: Header=BB4_77 Depth=1
	s_or_b32 exec_lo, exec_lo, s43
	v_and_b32_e32 v9, 0x100, v55
	v_and_b32_e32 v12, 7, v8
	s_mov_b32 s19, -1
	;;#ASMSTART
	s_wakeup
	;;#ASMEND
	v_cmp_ne_u32_e32 vcc_lo, 0, v9
                                        ; implicit-def: $vgpr8_vgpr9
	s_and_saveexec_b32 s43, vcc_lo
	s_cbranch_execz .LBB4_591
; %bb.588:                              ;   in Loop: Header=BB4_77 Depth=1
	v_mad_u64_u32 v[10:11], null, v12, 24, v[6:7]
	flat_load_dword v8, v[10:11]
	s_waitcnt vmcnt(0) lgkmcnt(0)
	v_cmp_eq_u32_e64 s19, 1, v8
	v_cmp_ne_u32_e32 vcc_lo, 1, v8
                                        ; implicit-def: $vgpr8_vgpr9
	s_and_saveexec_b32 s45, s19
	s_cbranch_execz .LBB4_590
; %bb.589:                              ;   in Loop: Header=BB4_77 Depth=1
	flat_load_dword v8, v[10:11] offset:4 glc dlc
	s_waitcnt vmcnt(0) lgkmcnt(0)
	v_ashrrev_i32_e32 v9, 31, v8
.LBB4_590:                              ;   in Loop: Header=BB4_77 Depth=1
	s_or_b32 exec_lo, exec_lo, s45
	s_orn2_b32 s19, vcc_lo, exec_lo
.LBB4_591:                              ;   in Loop: Header=BB4_77 Depth=1
	s_or_b32 exec_lo, exec_lo, s43
	s_and_saveexec_b32 s43, s19
; %bb.592:                              ;   in Loop: Header=BB4_77 Depth=1
	v_mad_i64_i32 v[8:9], null, v12, v64, 0
; %bb.593:                              ;   in Loop: Header=BB4_77 Depth=1
	s_or_b32 exec_lo, exec_lo, s43
	v_add_co_u32 v8, vcc_lo, v22, v8
	v_and_b32_e32 v10, 0x2000, v55
	v_add_co_ci_u32_e64 v9, null, v23, v9, vcc_lo
	s_mov_b32 s19, exec_lo
	ds_write_b64 v0, v[8:9] offset:720
	v_cmpx_ne_u32_e32 0, v10
	s_cbranch_execz .LBB4_595
; %bb.594:                              ;   in Loop: Header=BB4_77 Depth=1
	ds_read_b64 v[8:9], v0 offset:872
	s_waitcnt lgkmcnt(0)
	v_add_co_u32 v8, vcc_lo, v8, 1
	v_add_co_ci_u32_e64 v9, null, 0, v9, vcc_lo
	ds_write_b64 v0, v[8:9] offset:872
.LBB4_595:                              ;   in Loop: Header=BB4_77 Depth=1
	s_or_b32 exec_lo, exec_lo, s19
	v_mov_b32_e32 v9, v3
	v_mov_b32_e32 v8, v2
.LBB4_596:                              ;   in Loop: Header=BB4_77 Depth=1
	s_or_b32 exec_lo, exec_lo, s20
	s_and_saveexec_b32 s19, s7
	s_cbranch_execz .LBB4_664
; %bb.597:                              ;   in Loop: Header=BB4_77 Depth=1
	s_and_saveexec_b32 s20, s27
	s_xor_b32 s20, exec_lo, s20
	s_cbranch_execz .LBB4_661
; %bb.598:                              ;   in Loop: Header=BB4_77 Depth=1
	s_and_saveexec_b32 s43, s12
	s_cbranch_execz .LBB4_660
; %bb.599:                              ;   in Loop: Header=BB4_77 Depth=1
	s_mov_b32 s46, exec_lo
	s_mov_b32 s45, exec_lo
	v_mbcnt_lo_u32_b32 v2, s46, 0
	s_waitcnt vmcnt(0) lgkmcnt(0)
	s_waitcnt_vscnt null, 0x0
	buffer_gl1_inv
	buffer_gl0_inv
	v_cmpx_eq_u32_e32 0, v2
	s_cbranch_execz .LBB4_601
; %bb.600:                              ;   in Loop: Header=BB4_77 Depth=1
	s_bcnt1_i32_b32 s46, s46
	v_mov_b32_e32 v3, v1
	v_mov_b32_e32 v2, s46
	ds_add_u64 v0, v[2:3]
	s_trap 2
.LBB4_601:                              ;   in Loop: Header=BB4_77 Depth=1
	s_or_b32 exec_lo, exec_lo, s45
	s_trap 2
	ds_read_b64 v[2:3], v0
	s_waitcnt lgkmcnt(0)
	buffer_gl0_inv
	v_add_co_u32 v24, vcc_lo, v24, v66
	v_add_co_ci_u32_e64 v25, null, 0, v25, vcc_lo
	s_mov_b32 s45, exec_lo
	v_cmpx_lt_u64_e64 v[2:3], v[24:25]
	s_cbranch_execz .LBB4_659
; %bb.602:                              ;   in Loop: Header=BB4_77 Depth=1
	s_mov_b32 s46, 0
	s_mov_b32 s57, 0
                                        ; implicit-def: $sgpr47
                                        ; implicit-def: $sgpr56
	s_inst_prefetch 0x1
	s_branch .LBB4_604
	.p2align	6
.LBB4_603:                              ;   in Loop: Header=BB4_604 Depth=2
	s_or_b32 exec_lo, exec_lo, s59
	s_and_b32 s58, exec_lo, s60
	s_or_b32 s46, s58, s46
	s_andn2_b32 s47, s47, exec_lo
	s_and_b32 s58, s56, exec_lo
	s_or_b32 s47, s47, s58
	s_andn2_b32 exec_lo, exec_lo, s46
	s_cbranch_execz .LBB4_657
.LBB4_604:                              ;   Parent Loop BB4_77 Depth=1
                                        ; =>  This Inner Loop Header: Depth=2
	s_add_i32 s57, s57, 1
	s_cmpk_lg_i32 s57, 0x2710
	s_cselect_b32 s58, -1, 0
	s_and_b32 vcc_lo, exec_lo, s58
	s_cbranch_vccz .LBB4_606
; %bb.605:                              ;   in Loop: Header=BB4_604 Depth=2
	s_mov_b32 s60, -1
	s_or_b32 s56, s56, exec_lo
	s_and_saveexec_b32 s59, s58
	s_cbranch_execz .LBB4_603
	s_branch .LBB4_607
	.p2align	6
.LBB4_606:                              ;   in Loop: Header=BB4_604 Depth=2
	s_trap 2
	ds_read_b64 v[2:3], v0
	s_andn2_b32 s58, s58, exec_lo
	s_mov_b32 s57, 0
	s_waitcnt lgkmcnt(0)
	flat_load_dword v2, v[2:3] glc dlc
	s_waitcnt vmcnt(0) lgkmcnt(0)
	buffer_gl1_inv
	buffer_gl0_inv
	v_cmp_eq_u32_e32 vcc_lo, 0, v2
	s_and_b32 s59, vcc_lo, exec_lo
	s_or_b32 s58, s58, s59
	s_mov_b32 s60, -1
	s_or_b32 s56, s56, exec_lo
	s_and_saveexec_b32 s59, s58
	s_cbranch_execz .LBB4_603
.LBB4_607:                              ;   in Loop: Header=BB4_604 Depth=2
	s_sleep 1
	s_trap 2
	ds_read_b64 v[2:3], v0
	s_waitcnt lgkmcnt(0)
	buffer_gl0_inv
	s_andn2_b32 s56, s56, exec_lo
	v_cmp_ge_u64_e32 vcc_lo, v[2:3], v[24:25]
	s_orn2_b32 s60, vcc_lo, exec_lo
	s_branch .LBB4_603
.LBB4_608:                              ;   in Loop: Header=BB4_77 Depth=1
	s_inst_prefetch 0x2
	s_or_b32 exec_lo, exec_lo, s46
	s_and_saveexec_b32 s46, s47
	s_xor_b32 s46, exec_lo, s46
	s_cbranch_execz .LBB4_610
; %bb.609:                              ;   in Loop: Header=BB4_77 Depth=1
	ds_write_b32 v0, v70
	s_trap 2
.LBB4_610:                              ;   in Loop: Header=BB4_77 Depth=1
	s_or_b32 exec_lo, exec_lo, s23
	;;#ASMSTART
	s_wakeup
	;;#ASMEND
.LBB4_611:                              ;   in Loop: Header=BB4_77 Depth=1
	s_or_b32 exec_lo, exec_lo, s22
.LBB4_612:                              ;   in Loop: Header=BB4_77 Depth=1
	s_andn2_saveexec_b32 s21, s21
	s_cbranch_execz .LBB4_614
; %bb.613:                              ;   in Loop: Header=BB4_77 Depth=1
	;;#ASMSTART
	s_waitcnt lgkmcnt(0) vmcnt(0)
	;;#ASMEND
	s_barrier
.LBB4_614:                              ;   in Loop: Header=BB4_77 Depth=1
	s_or_b32 exec_lo, exec_lo, s21
.LBB4_615:                              ;   in Loop: Header=BB4_77 Depth=1
	s_or_b32 exec_lo, exec_lo, s19
	s_mov_b32 s19, 0
	s_mov_b32 s21, s43
	s_mov_b32 s22, exec_lo
	v_cmpx_ne_u32_e32 0, v3
	s_xor_b32 s22, exec_lo, s22
; %bb.616:                              ;   in Loop: Header=BB4_77 Depth=1
	s_andn2_b32 s19, s43, exec_lo
	s_and_b32 s21, s10, exec_lo
	s_or_b32 s21, s19, s21
	s_and_b32 s19, s11, exec_lo
; %bb.617:                              ;   in Loop: Header=BB4_77 Depth=1
	s_or_b32 exec_lo, exec_lo, s22
	s_andn2_b32 s22, s43, exec_lo
	s_and_b32 s21, s21, exec_lo
	s_and_b32 s19, s19, exec_lo
	s_or_b32 s21, s22, s21
.LBB4_618:                              ;   in Loop: Header=BB4_77 Depth=1
	s_or_b32 exec_lo, exec_lo, s20
	s_andn2_b32 s20, s43, exec_lo
	s_and_b32 s21, s21, exec_lo
                                        ; implicit-def: $vgpr38
                                        ; implicit-def: $vgpr103
                                        ; implicit-def: $vgpr2
                                        ; implicit-def: $vgpr3
	s_or_b32 s20, s20, s21
	s_and_b32 s21, s19, exec_lo
.LBB4_619:                              ;   in Loop: Header=BB4_77 Depth=1
	s_andn2_saveexec_b32 s22, s45
	s_cbranch_execz .LBB4_988
; %bb.620:                              ;   in Loop: Header=BB4_77 Depth=1
	v_mov_b32_e32 v10, 0
	s_and_saveexec_b32 s23, s18
	s_cbranch_execz .LBB4_900
; %bb.621:                              ;   in Loop: Header=BB4_77 Depth=1
	s_and_saveexec_b32 s18, s4
	s_cbranch_execz .LBB4_623
; %bb.622:                              ;   in Loop: Header=BB4_77 Depth=1
	s_trap 2
	ds_read_b64 v[10:11], v0
	s_waitcnt lgkmcnt(0)
	v_add_co_u32 v10, vcc_lo, v10, v2
	v_add_co_ci_u32_e64 v11, null, v11, v3, vcc_lo
	v_mov_b32_e32 v2, v1
	ds_write_b64 v0, v[10:11]
	ds_write_b64 v0, v[1:2]
.LBB4_623:                              ;   in Loop: Header=BB4_77 Depth=1
	s_or_b32 exec_lo, exec_lo, s18
	v_and_b32_e32 v2, 8, v55
	v_min_i32_e32 v38, v38, v103
	s_mov_b32 s19, exec_lo
	v_cmpx_ne_u32_e32 0, v2
	s_cbranch_execz .LBB4_645
; %bb.624:                              ;   in Loop: Header=BB4_77 Depth=1
	s_waitcnt vmcnt(0) lgkmcnt(1)
	v_add_co_u32 v10, vcc_lo, v28, 8
	v_add_co_ci_u32_e64 v11, null, 0, v29, vcc_lo
	v_add_co_u32 v2, vcc_lo, v8, 1
	v_add_co_ci_u32_e64 v3, null, 0, v9, vcc_lo
	s_mov_b32 s45, exec_lo
	v_cmpx_lt_u64_e64 v[10:11], v[2:3]
	s_cbranch_execz .LBB4_636
; %bb.625:                              ;   in Loop: Header=BB4_77 Depth=1
	v_and_b32_e32 v9, 64, v55
	s_mov_b32 s46, 0
	s_mov_b32 s58, 0
                                        ; implicit-def: $sgpr47
                                        ; implicit-def: $sgpr56
                                        ; implicit-def: $sgpr57
	v_cmp_eq_u32_e32 vcc_lo, 0, v9
	s_branch .LBB4_629
.LBB4_626:                              ;   in Loop: Header=BB4_629 Depth=2
	s_waitcnt vmcnt(0) lgkmcnt(0)
	v_add_co_u32 v10, s18, v28, 8
	v_add_co_ci_u32_e64 v11, null, 0, v29, s18
	s_or_b32 s61, s61, exec_lo
	v_cmp_ge_u64_e64 s18, v[10:11], v[2:3]
	s_orn2_b32 s60, s18, exec_lo
.LBB4_627:                              ;   in Loop: Header=BB4_629 Depth=2
	s_or_b32 exec_lo, exec_lo, s63
	s_andn2_b32 s18, s57, exec_lo
	s_and_b32 s57, s61, exec_lo
	s_andn2_b32 s56, s56, exec_lo
	s_and_b32 s60, s60, exec_lo
	s_or_b32 s57, s18, s57
	s_or_b32 s56, s56, s60
.LBB4_628:                              ;   in Loop: Header=BB4_629 Depth=2
	s_or_b32 exec_lo, exec_lo, s59
	s_and_b32 s18, exec_lo, s56
	s_or_b32 s46, s18, s46
	s_andn2_b32 s18, s47, exec_lo
	s_and_b32 s47, s57, exec_lo
	s_or_b32 s47, s18, s47
	s_andn2_b32 exec_lo, exec_lo, s46
	s_cbranch_execz .LBB4_633
.LBB4_629:                              ;   Parent Loop BB4_77 Depth=1
                                        ; =>  This Inner Loop Header: Depth=2
	s_sleep 1
	s_waitcnt vmcnt(0) lgkmcnt(0)
	flat_load_dwordx2 v[28:29], v[20:21] glc dlc
	s_or_b32 s57, s57, exec_lo
	s_or_b32 s56, s56, exec_lo
                                        ; implicit-def: $vgpr9
	s_and_saveexec_b32 s59, vcc_lo
	s_cbranch_execz .LBB4_628
; %bb.630:                              ;   in Loop: Header=BB4_629 Depth=2
	s_cmpk_lt_i32 s58, 0x270f
	s_mov_b32 s60, -1
	s_cselect_b32 s62, -1, 0
	s_cmpk_gt_i32 s58, 0x270e
	s_cbranch_scc0 .LBB4_632
; %bb.631:                              ;   in Loop: Header=BB4_629 Depth=2
	s_trap 2
	ds_read_b64 v[9:10], v0
	s_andn2_b32 s58, s62, exec_lo
	s_mov_b32 s61, 0
	s_waitcnt vmcnt(0) lgkmcnt(0)
	s_waitcnt_vscnt null, 0x0
	flat_load_dword v9, v[9:10] glc dlc
	s_waitcnt vmcnt(0) lgkmcnt(0)
	buffer_gl1_inv
	buffer_gl0_inv
	v_cmp_eq_u32_e64 s18, 0, v9
	s_and_b32 s18, s18, exec_lo
	s_or_b32 s62, s58, s18
	s_mov_b32 s58, 0
	s_and_saveexec_b32 s63, s62
	s_cbranch_execz .LBB4_627
	s_branch .LBB4_626
.LBB4_632:                              ;   in Loop: Header=BB4_629 Depth=2
	s_add_i32 s58, s58, 1
	s_mov_b32 s61, -1
                                        ; implicit-def: $vgpr9
	s_and_saveexec_b32 s63, s62
	s_cbranch_execz .LBB4_627
	s_branch .LBB4_626
.LBB4_633:                              ;   in Loop: Header=BB4_77 Depth=1
	s_or_b32 exec_lo, exec_lo, s46
	s_xor_b32 s18, s47, -1
	s_and_saveexec_b32 s46, s18
	s_xor_b32 s18, exec_lo, s46
	s_cbranch_execz .LBB4_635
; %bb.634:                              ;   in Loop: Header=BB4_77 Depth=1
	v_or_b32_e32 v55, 64, v55
	s_waitcnt vmcnt(0) lgkmcnt(0)
	s_waitcnt_vscnt null, 0x0
	ds_write_b32 v0, v9
	s_trap 2
.LBB4_635:                              ;   in Loop: Header=BB4_77 Depth=1
	s_or_b32 exec_lo, exec_lo, s18
.LBB4_636:                              ;   in Loop: Header=BB4_77 Depth=1
	s_or_b32 exec_lo, exec_lo, s45
	v_and_b32_e32 v9, 0x100, v55
	v_and_b32_e32 v12, 7, v8
	s_mov_b32 s18, -1
	;;#ASMSTART
	s_wakeup
	;;#ASMEND
	v_cmp_ne_u32_e32 vcc_lo, 0, v9
                                        ; implicit-def: $vgpr8_vgpr9
	s_and_saveexec_b32 s45, vcc_lo
	s_cbranch_execz .LBB4_640
; %bb.637:                              ;   in Loop: Header=BB4_77 Depth=1
	v_mad_u64_u32 v[10:11], null, v12, 24, v[6:7]
	v_ashrrev_i32_e32 v39, 31, v38
	flat_load_dword v8, v[10:11]
	flat_store_dwordx2 v[10:11], v[38:39] offset:8
	s_waitcnt vmcnt(0) lgkmcnt(1)
	v_cmp_eq_u32_e64 s18, 1, v8
	v_cmp_ne_u32_e32 vcc_lo, 1, v8
                                        ; implicit-def: $vgpr8_vgpr9
	s_and_saveexec_b32 s46, s18
	s_cbranch_execz .LBB4_639
; %bb.638:                              ;   in Loop: Header=BB4_77 Depth=1
	flat_load_dword v8, v[10:11] offset:4 glc dlc
	s_waitcnt vmcnt(0) lgkmcnt(0)
	v_ashrrev_i32_e32 v9, 31, v8
.LBB4_639:                              ;   in Loop: Header=BB4_77 Depth=1
	s_or_b32 exec_lo, exec_lo, s46
	s_orn2_b32 s18, vcc_lo, exec_lo
.LBB4_640:                              ;   in Loop: Header=BB4_77 Depth=1
	s_or_b32 exec_lo, exec_lo, s45
	s_and_saveexec_b32 s45, s18
; %bb.641:                              ;   in Loop: Header=BB4_77 Depth=1
	v_mad_i64_i32 v[8:9], null, v12, v64, 0
; %bb.642:                              ;   in Loop: Header=BB4_77 Depth=1
	s_or_b32 exec_lo, exec_lo, s45
	v_add_co_u32 v8, vcc_lo, v22, v8
	v_and_b32_e32 v10, 0x2000, v55
	v_add_co_ci_u32_e64 v9, null, v23, v9, vcc_lo
	s_mov_b32 s18, exec_lo
	ds_write_b64 v0, v[8:9] offset:784
	v_cmpx_ne_u32_e32 0, v10
	s_cbranch_execz .LBB4_644
; %bb.643:                              ;   in Loop: Header=BB4_77 Depth=1
	ds_read_b64 v[8:9], v0 offset:872
	s_waitcnt lgkmcnt(0)
	v_add_co_u32 v8, vcc_lo, v8, 1
	v_add_co_ci_u32_e64 v9, null, 0, v9, vcc_lo
	ds_write_b64 v0, v[8:9] offset:872
.LBB4_644:                              ;   in Loop: Header=BB4_77 Depth=1
	s_or_b32 exec_lo, exec_lo, s18
	v_mov_b32_e32 v9, v3
	v_mov_b32_e32 v8, v2
.LBB4_645:                              ;   in Loop: Header=BB4_77 Depth=1
	s_or_b32 exec_lo, exec_lo, s19
	s_and_saveexec_b32 s18, s7
	s_cbranch_execz .LBB4_683
; %bb.646:                              ;   in Loop: Header=BB4_77 Depth=1
	s_and_saveexec_b32 s19, s27
	s_xor_b32 s19, exec_lo, s19
	s_cbranch_execz .LBB4_680
; %bb.647:                              ;   in Loop: Header=BB4_77 Depth=1
	s_and_saveexec_b32 s45, s12
	s_cbranch_execz .LBB4_679
; %bb.648:                              ;   in Loop: Header=BB4_77 Depth=1
	s_mov_b32 s47, exec_lo
	s_mov_b32 s46, exec_lo
	v_mbcnt_lo_u32_b32 v2, s47, 0
	s_waitcnt vmcnt(0) lgkmcnt(0)
	s_waitcnt_vscnt null, 0x0
	buffer_gl1_inv
	buffer_gl0_inv
	v_cmpx_eq_u32_e32 0, v2
	s_cbranch_execz .LBB4_650
; %bb.649:                              ;   in Loop: Header=BB4_77 Depth=1
	s_bcnt1_i32_b32 s47, s47
	v_mov_b32_e32 v3, v1
	v_mov_b32_e32 v2, s47
	ds_add_u64 v0, v[2:3]
	s_trap 2
.LBB4_650:                              ;   in Loop: Header=BB4_77 Depth=1
	s_or_b32 exec_lo, exec_lo, s46
	s_trap 2
	ds_read_b64 v[2:3], v0
	s_waitcnt lgkmcnt(0)
	buffer_gl0_inv
	v_add_co_u32 v24, vcc_lo, v24, v66
	v_add_co_ci_u32_e64 v25, null, 0, v25, vcc_lo
	s_mov_b32 s46, exec_lo
	v_cmpx_lt_u64_e64 v[2:3], v[24:25]
	s_cbranch_execz .LBB4_678
; %bb.651:                              ;   in Loop: Header=BB4_77 Depth=1
	s_mov_b32 s47, 0
	s_mov_b32 s58, 0
                                        ; implicit-def: $sgpr56
                                        ; implicit-def: $sgpr57
	s_inst_prefetch 0x1
	s_branch .LBB4_653
	.p2align	6
.LBB4_652:                              ;   in Loop: Header=BB4_653 Depth=2
	s_or_b32 exec_lo, exec_lo, s60
	s_and_b32 s59, exec_lo, s61
	s_or_b32 s47, s59, s47
	s_andn2_b32 s56, s56, exec_lo
	s_and_b32 s59, s57, exec_lo
	s_or_b32 s56, s56, s59
	s_andn2_b32 exec_lo, exec_lo, s47
	s_cbranch_execz .LBB4_676
.LBB4_653:                              ;   Parent Loop BB4_77 Depth=1
                                        ; =>  This Inner Loop Header: Depth=2
	s_add_i32 s58, s58, 1
	s_cmpk_lg_i32 s58, 0x2710
	s_cselect_b32 s59, -1, 0
	s_and_b32 vcc_lo, exec_lo, s59
	s_cbranch_vccz .LBB4_655
; %bb.654:                              ;   in Loop: Header=BB4_653 Depth=2
	s_mov_b32 s61, -1
	s_or_b32 s57, s57, exec_lo
	s_and_saveexec_b32 s60, s59
	s_cbranch_execz .LBB4_652
	s_branch .LBB4_656
	.p2align	6
.LBB4_655:                              ;   in Loop: Header=BB4_653 Depth=2
	s_trap 2
	ds_read_b64 v[2:3], v0
	s_andn2_b32 s59, s59, exec_lo
	s_mov_b32 s58, 0
	s_waitcnt lgkmcnt(0)
	flat_load_dword v2, v[2:3] glc dlc
	s_waitcnt vmcnt(0) lgkmcnt(0)
	buffer_gl1_inv
	buffer_gl0_inv
	v_cmp_eq_u32_e32 vcc_lo, 0, v2
	s_and_b32 s60, vcc_lo, exec_lo
	s_or_b32 s59, s59, s60
	s_mov_b32 s61, -1
	s_or_b32 s57, s57, exec_lo
	s_and_saveexec_b32 s60, s59
	s_cbranch_execz .LBB4_652
.LBB4_656:                              ;   in Loop: Header=BB4_653 Depth=2
	s_sleep 1
	s_trap 2
	ds_read_b64 v[2:3], v0
	s_waitcnt lgkmcnt(0)
	buffer_gl0_inv
	s_andn2_b32 s57, s57, exec_lo
	v_cmp_ge_u64_e32 vcc_lo, v[2:3], v[24:25]
	s_orn2_b32 s61, vcc_lo, exec_lo
	s_branch .LBB4_652
.LBB4_657:                              ;   in Loop: Header=BB4_77 Depth=1
	s_inst_prefetch 0x2
	s_or_b32 exec_lo, exec_lo, s46
	s_and_saveexec_b32 s46, s47
	s_xor_b32 s46, exec_lo, s46
	s_cbranch_execz .LBB4_659
; %bb.658:                              ;   in Loop: Header=BB4_77 Depth=1
	ds_write_b32 v0, v70
	s_trap 2
.LBB4_659:                              ;   in Loop: Header=BB4_77 Depth=1
	s_or_b32 exec_lo, exec_lo, s45
	;;#ASMSTART
	s_wakeup
	;;#ASMEND
.LBB4_660:                              ;   in Loop: Header=BB4_77 Depth=1
	s_or_b32 exec_lo, exec_lo, s43
.LBB4_661:                              ;   in Loop: Header=BB4_77 Depth=1
	s_andn2_saveexec_b32 s20, s20
	s_cbranch_execz .LBB4_663
; %bb.662:                              ;   in Loop: Header=BB4_77 Depth=1
	s_waitcnt vmcnt(0) lgkmcnt(0)
	s_waitcnt_vscnt null, 0x0
	buffer_gl1_inv
	buffer_gl0_inv
	s_barrier
.LBB4_663:                              ;   in Loop: Header=BB4_77 Depth=1
	s_or_b32 exec_lo, exec_lo, s20
.LBB4_664:                              ;   in Loop: Header=BB4_77 Depth=1
	s_or_b32 exec_lo, exec_lo, s19
	s_trap 2
	ds_read_b32 v12, v0
	v_and_b32_e32 v2, 0x4000, v55
	v_cmp_ne_u32_e32 vcc_lo, 0, v2
	s_and_b32 s20, s42, vcc_lo
	s_and_saveexec_b32 s19, s20
	s_cbranch_execz .LBB4_702
; %bb.665:                              ;   in Loop: Header=BB4_77 Depth=1
	s_and_saveexec_b32 s20, s27
	s_xor_b32 s20, exec_lo, s20
	s_cbranch_execz .LBB4_699
; %bb.666:                              ;   in Loop: Header=BB4_77 Depth=1
	s_and_saveexec_b32 s43, s12
	s_cbranch_execz .LBB4_698
; %bb.667:                              ;   in Loop: Header=BB4_77 Depth=1
	s_mov_b32 s46, exec_lo
	s_mov_b32 s45, exec_lo
	v_mbcnt_lo_u32_b32 v2, s46, 0
	s_waitcnt vmcnt(0) lgkmcnt(0)
	s_waitcnt_vscnt null, 0x0
	buffer_gl1_inv
	buffer_gl0_inv
	v_cmpx_eq_u32_e32 0, v2
	s_cbranch_execz .LBB4_669
; %bb.668:                              ;   in Loop: Header=BB4_77 Depth=1
	s_bcnt1_i32_b32 s46, s46
	v_mov_b32_e32 v3, v1
	v_mov_b32_e32 v2, s46
	ds_add_u64 v0, v[2:3]
	s_trap 2
.LBB4_669:                              ;   in Loop: Header=BB4_77 Depth=1
	s_or_b32 exec_lo, exec_lo, s45
	s_trap 2
	ds_read_b64 v[2:3], v0
	s_waitcnt lgkmcnt(0)
	buffer_gl0_inv
	v_add_co_u32 v24, vcc_lo, v24, v66
	v_add_co_ci_u32_e64 v25, null, 0, v25, vcc_lo
	s_mov_b32 s45, exec_lo
	v_cmpx_lt_u64_e64 v[2:3], v[24:25]
	s_cbranch_execz .LBB4_697
; %bb.670:                              ;   in Loop: Header=BB4_77 Depth=1
	s_mov_b32 s46, 0
	s_mov_b32 s57, 0
                                        ; implicit-def: $sgpr47
                                        ; implicit-def: $sgpr56
	s_inst_prefetch 0x1
	s_branch .LBB4_672
	.p2align	6
.LBB4_671:                              ;   in Loop: Header=BB4_672 Depth=2
	s_or_b32 exec_lo, exec_lo, s59
	s_and_b32 s58, exec_lo, s60
	s_or_b32 s46, s58, s46
	s_andn2_b32 s47, s47, exec_lo
	s_and_b32 s58, s56, exec_lo
	s_or_b32 s47, s47, s58
	s_andn2_b32 exec_lo, exec_lo, s46
	s_cbranch_execz .LBB4_695
.LBB4_672:                              ;   Parent Loop BB4_77 Depth=1
                                        ; =>  This Inner Loop Header: Depth=2
	s_add_i32 s57, s57, 1
	s_cmpk_lg_i32 s57, 0x2710
	s_cselect_b32 s58, -1, 0
	s_and_b32 vcc_lo, exec_lo, s58
	s_cbranch_vccz .LBB4_674
; %bb.673:                              ;   in Loop: Header=BB4_672 Depth=2
	s_mov_b32 s60, -1
	s_or_b32 s56, s56, exec_lo
	s_and_saveexec_b32 s59, s58
	s_cbranch_execz .LBB4_671
	s_branch .LBB4_675
	.p2align	6
.LBB4_674:                              ;   in Loop: Header=BB4_672 Depth=2
	s_trap 2
	ds_read_b64 v[2:3], v0
	s_andn2_b32 s58, s58, exec_lo
	s_mov_b32 s57, 0
	s_waitcnt lgkmcnt(0)
	flat_load_dword v2, v[2:3] glc dlc
	s_waitcnt vmcnt(0) lgkmcnt(0)
	buffer_gl1_inv
	buffer_gl0_inv
	v_cmp_eq_u32_e32 vcc_lo, 0, v2
	s_and_b32 s59, vcc_lo, exec_lo
	s_or_b32 s58, s58, s59
	s_mov_b32 s60, -1
	s_or_b32 s56, s56, exec_lo
	s_and_saveexec_b32 s59, s58
	s_cbranch_execz .LBB4_671
.LBB4_675:                              ;   in Loop: Header=BB4_672 Depth=2
	s_sleep 1
	s_trap 2
	ds_read_b64 v[2:3], v0
	s_waitcnt lgkmcnt(0)
	buffer_gl0_inv
	s_andn2_b32 s56, s56, exec_lo
	v_cmp_ge_u64_e32 vcc_lo, v[2:3], v[24:25]
	s_orn2_b32 s60, vcc_lo, exec_lo
	s_branch .LBB4_671
.LBB4_676:                              ;   in Loop: Header=BB4_77 Depth=1
	s_inst_prefetch 0x2
	s_or_b32 exec_lo, exec_lo, s47
	s_and_saveexec_b32 s47, s56
	s_xor_b32 s47, exec_lo, s47
	s_cbranch_execz .LBB4_678
; %bb.677:                              ;   in Loop: Header=BB4_77 Depth=1
	ds_write_b32 v0, v70
	s_trap 2
.LBB4_678:                              ;   in Loop: Header=BB4_77 Depth=1
	s_or_b32 exec_lo, exec_lo, s46
	;;#ASMSTART
	s_wakeup
	;;#ASMEND
.LBB4_679:                              ;   in Loop: Header=BB4_77 Depth=1
	s_or_b32 exec_lo, exec_lo, s45
.LBB4_680:                              ;   in Loop: Header=BB4_77 Depth=1
	s_andn2_saveexec_b32 s19, s19
	s_cbranch_execz .LBB4_682
; %bb.681:                              ;   in Loop: Header=BB4_77 Depth=1
	s_waitcnt vmcnt(0) lgkmcnt(0)
	s_waitcnt_vscnt null, 0x0
	buffer_gl1_inv
	buffer_gl0_inv
	s_barrier
.LBB4_682:                              ;   in Loop: Header=BB4_77 Depth=1
	s_or_b32 exec_lo, exec_lo, s19
.LBB4_683:                              ;   in Loop: Header=BB4_77 Depth=1
	s_or_b32 exec_lo, exec_lo, s18
	s_trap 2
	ds_read_b32 v12, v0
	v_and_b32_e32 v2, 0x4000, v55
	v_cmp_ne_u32_e32 vcc_lo, 0, v2
	s_and_b32 s19, s42, vcc_lo
	s_and_saveexec_b32 s18, s19
	s_cbranch_execz .LBB4_755
; %bb.684:                              ;   in Loop: Header=BB4_77 Depth=1
	s_and_saveexec_b32 s19, s27
	s_xor_b32 s19, exec_lo, s19
	s_cbranch_execz .LBB4_752
; %bb.685:                              ;   in Loop: Header=BB4_77 Depth=1
	s_and_saveexec_b32 s45, s12
	s_cbranch_execz .LBB4_751
; %bb.686:                              ;   in Loop: Header=BB4_77 Depth=1
	s_mov_b32 s47, exec_lo
	s_mov_b32 s46, exec_lo
	v_mbcnt_lo_u32_b32 v2, s47, 0
	s_waitcnt vmcnt(0) lgkmcnt(0)
	s_waitcnt_vscnt null, 0x0
	buffer_gl1_inv
	buffer_gl0_inv
	v_cmpx_eq_u32_e32 0, v2
	s_cbranch_execz .LBB4_688
; %bb.687:                              ;   in Loop: Header=BB4_77 Depth=1
	s_bcnt1_i32_b32 s47, s47
	v_mov_b32_e32 v3, v1
	v_mov_b32_e32 v2, s47
	ds_add_u64 v0, v[2:3]
	s_trap 2
.LBB4_688:                              ;   in Loop: Header=BB4_77 Depth=1
	s_or_b32 exec_lo, exec_lo, s46
	s_trap 2
	ds_read_b64 v[2:3], v0
	s_waitcnt lgkmcnt(0)
	buffer_gl0_inv
	v_add_co_u32 v24, vcc_lo, v24, v66
	v_add_co_ci_u32_e64 v25, null, 0, v25, vcc_lo
	s_mov_b32 s46, exec_lo
	v_cmpx_lt_u64_e64 v[2:3], v[24:25]
	s_cbranch_execz .LBB4_750
; %bb.689:                              ;   in Loop: Header=BB4_77 Depth=1
	s_mov_b32 s47, 0
	s_mov_b32 s58, 0
                                        ; implicit-def: $sgpr56
                                        ; implicit-def: $sgpr57
	s_inst_prefetch 0x1
	s_branch .LBB4_691
	.p2align	6
.LBB4_690:                              ;   in Loop: Header=BB4_691 Depth=2
	s_or_b32 exec_lo, exec_lo, s60
	s_and_b32 s59, exec_lo, s61
	s_or_b32 s47, s59, s47
	s_andn2_b32 s56, s56, exec_lo
	s_and_b32 s59, s57, exec_lo
	s_or_b32 s56, s56, s59
	s_andn2_b32 exec_lo, exec_lo, s47
	s_cbranch_execz .LBB4_748
.LBB4_691:                              ;   Parent Loop BB4_77 Depth=1
                                        ; =>  This Inner Loop Header: Depth=2
	s_add_i32 s58, s58, 1
	s_cmpk_lg_i32 s58, 0x2710
	s_cselect_b32 s59, -1, 0
	s_and_b32 vcc_lo, exec_lo, s59
	s_cbranch_vccz .LBB4_693
; %bb.692:                              ;   in Loop: Header=BB4_691 Depth=2
	s_mov_b32 s61, -1
	s_or_b32 s57, s57, exec_lo
	s_and_saveexec_b32 s60, s59
	s_cbranch_execz .LBB4_690
	s_branch .LBB4_694
	.p2align	6
.LBB4_693:                              ;   in Loop: Header=BB4_691 Depth=2
	s_trap 2
	ds_read_b64 v[2:3], v0
	s_andn2_b32 s59, s59, exec_lo
	s_mov_b32 s58, 0
	s_waitcnt lgkmcnt(0)
	flat_load_dword v2, v[2:3] glc dlc
	s_waitcnt vmcnt(0) lgkmcnt(0)
	buffer_gl1_inv
	buffer_gl0_inv
	v_cmp_eq_u32_e32 vcc_lo, 0, v2
	s_and_b32 s60, vcc_lo, exec_lo
	s_or_b32 s59, s59, s60
	s_mov_b32 s61, -1
	s_or_b32 s57, s57, exec_lo
	s_and_saveexec_b32 s60, s59
	s_cbranch_execz .LBB4_690
.LBB4_694:                              ;   in Loop: Header=BB4_691 Depth=2
	s_sleep 1
	s_trap 2
	ds_read_b64 v[2:3], v0
	s_waitcnt lgkmcnt(0)
	buffer_gl0_inv
	s_andn2_b32 s57, s57, exec_lo
	v_cmp_ge_u64_e32 vcc_lo, v[2:3], v[24:25]
	s_orn2_b32 s61, vcc_lo, exec_lo
	s_branch .LBB4_690
.LBB4_695:                              ;   in Loop: Header=BB4_77 Depth=1
	s_inst_prefetch 0x2
	s_or_b32 exec_lo, exec_lo, s46
	s_and_saveexec_b32 s46, s47
	s_xor_b32 s46, exec_lo, s46
	s_cbranch_execz .LBB4_697
; %bb.696:                              ;   in Loop: Header=BB4_77 Depth=1
	ds_write_b32 v0, v70
	s_trap 2
.LBB4_697:                              ;   in Loop: Header=BB4_77 Depth=1
	s_or_b32 exec_lo, exec_lo, s45
	;;#ASMSTART
	s_wakeup
	;;#ASMEND
.LBB4_698:                              ;   in Loop: Header=BB4_77 Depth=1
	s_or_b32 exec_lo, exec_lo, s43
.LBB4_699:                              ;   in Loop: Header=BB4_77 Depth=1
	s_andn2_saveexec_b32 s20, s20
	s_cbranch_execz .LBB4_701
; %bb.700:                              ;   in Loop: Header=BB4_77 Depth=1
	s_waitcnt vmcnt(0) lgkmcnt(0)
	s_waitcnt_vscnt null, 0x0
	buffer_gl1_inv
	buffer_gl0_inv
	s_barrier
.LBB4_701:                              ;   in Loop: Header=BB4_77 Depth=1
	s_or_b32 exec_lo, exec_lo, s20
.LBB4_702:                              ;   in Loop: Header=BB4_77 Depth=1
	s_or_b32 exec_lo, exec_lo, s19
	s_trap 2
	ds_read_b64 v[2:3], v0
	v_min_i32_e32 v38, v38, v103
	s_waitcnt lgkmcnt(0)
	v_cmp_eq_u64_e32 vcc_lo, 0, v[2:3]
	s_cbranch_vccnz .LBB4_736
; %bb.703:                              ;   in Loop: Header=BB4_77 Depth=1
	s_trap 2
	ds_read_b64 v[10:11], v0
	s_waitcnt lgkmcnt(0)
	v_cmp_eq_u64_e32 vcc_lo, 0, v[10:11]
	s_cbranch_vccnz .LBB4_736
; %bb.704:                              ;   in Loop: Header=BB4_77 Depth=1
	s_mov_b32 s19, -1
	s_and_saveexec_b32 s20, s13
	s_cbranch_execz .LBB4_706
; %bb.705:                              ;   in Loop: Header=BB4_77 Depth=1
	ds_read_b32 v13, v0 offset:720
	s_waitcnt lgkmcnt(0)
	v_and_b32_e32 v13, 15, v13
	v_cmp_eq_u32_e32 vcc_lo, 0, v13
	s_orn2_b32 s19, vcc_lo, exec_lo
.LBB4_706:                              ;   in Loop: Header=BB4_77 Depth=1
	s_or_b32 exec_lo, exec_lo, s20
	s_and_saveexec_b32 s20, s16
	s_cbranch_execz .LBB4_708
; %bb.707:                              ;   in Loop: Header=BB4_77 Depth=1
	ds_read_b32 v13, v0 offset:784
	s_waitcnt lgkmcnt(0)
	v_and_b32_e32 v13, 15, v13
	v_cmp_eq_u32_e32 vcc_lo, 0, v13
	s_and_b32 s43, s19, vcc_lo
	s_andn2_b32 s19, s19, exec_lo
	s_and_b32 s43, s43, exec_lo
	s_or_b32 s19, s19, s43
.LBB4_708:                              ;   in Loop: Header=BB4_77 Depth=1
	s_or_b32 exec_lo, exec_lo, s20
	v_cmp_eq_u32_e32 vcc_lo, 0, v12
	s_xor_b32 s19, s19, -1
	v_mov_b32_e32 v12, 0
	v_cndmask_b32_e64 v13, 0, 1, s19
	v_mov_b32_e32 v48, v0
	v_cndmask_b32_e32 v39, 0, v38, vcc_lo
	v_mov_b32_e32 v112, v87
	s_mov_b32 s19, -1
	v_cmp_ne_u32_e32 vcc_lo, 0, v13
	v_mov_b32_e32 v13, v39
	s_cbranch_vccnz .LBB4_722
; %bb.709:                              ;   in Loop: Header=BB4_77 Depth=1
	v_ashrrev_i32_e32 v12, 31, v39
	s_mov_b32 s20, exec_lo
	v_lshrrev_b32_e32 v12, 22, v12
	v_add_nc_u32_e32 v12, v39, v12
	v_ashrrev_i32_e32 v48, 10, v12
	v_sub_nc_u32_e32 v50, v48, v87
	v_cmpx_lt_i32_e32 0, v50
	s_cbranch_execz .LBB4_713
; %bb.710:                              ;   in Loop: Header=BB4_77 Depth=1
	v_mov_b32_e32 v12, v36
	v_mov_b32_e32 v13, v37
	s_mov_b32 s43, 0
	.p2align	6
.LBB4_711:                              ;   Parent Loop BB4_77 Depth=1
                                        ; =>  This Inner Loop Header: Depth=2
	v_add_co_u32 v51, vcc_lo, v2, v12
	v_add_co_ci_u32_e64 v52, null, v3, v13, vcc_lo
	v_sub_nc_u32_e32 v50, v50, v66
	s_clause 0x1
	global_load_dwordx4 v[112:115], v[51:52], off slc
	global_load_dwordx4 v[116:119], v[51:52], off offset:512 slc
	v_add_co_u32 v51, vcc_lo, v10, v12
	v_add_co_ci_u32_e64 v52, null, v11, v13, vcc_lo
	v_cmp_gt_i32_e32 vcc_lo, 1, v50
	v_add_co_u32 v12, s19, v12, v84
	v_add_co_ci_u32_e64 v13, null, 0, v13, s19
	s_or_b32 s43, vcc_lo, s43
	s_waitcnt vmcnt(1)
	global_store_dwordx4 v[51:52], v[112:115], off glc slc
	s_waitcnt vmcnt(0)
	global_store_dwordx4 v[51:52], v[116:119], off offset:512 glc slc
	s_andn2_b32 exec_lo, exec_lo, s43
	s_cbranch_execnz .LBB4_711
; %bb.712:                              ;   in Loop: Header=BB4_77 Depth=1
	s_or_b32 exec_lo, exec_lo, s43
.LBB4_713:                              ;   in Loop: Header=BB4_77 Depth=1
	s_or_b32 exec_lo, exec_lo, s20
	v_lshlrev_b32_e32 v49, 10, v48
	v_mov_b32_e32 v12, 0
	s_mov_b32 s19, 0
	s_mov_b32 s43, exec_lo
                                        ; implicit-def: $vgpr13
                                        ; implicit-def: $vgpr48
                                        ; implicit-def: $vgpr112
	v_cmpx_ne_u32_e64 v39, v49
	s_cbranch_execz .LBB4_721
; %bb.714:                              ;   in Loop: Header=BB4_77 Depth=1
	v_lshlrev_b32_e32 v12, 5, v50
	v_sub_nc_u32_e32 v48, v39, v49
	s_mov_b32 s45, exec_lo
	v_sub_nc_u32_e32 v12, v99, v12
	v_ashrrev_i32_e32 v50, 31, v48
	v_ashrrev_i32_e32 v13, 31, v12
	v_lshrrev_b32_e32 v50, 23, v50
	v_lshrrev_b32_e32 v13, 27, v13
	v_add_nc_u32_e32 v53, v48, v50
	v_add_nc_u32_e32 v13, v12, v13
	v_and_b32_e32 v50, 0xfffffe00, v53
	v_ashrrev_i32_e32 v53, 9, v53
	v_and_b32_e32 v51, 0xffffffe0, v13
	v_sub_nc_u32_e32 v52, v48, v50
	v_ashrrev_i32_e32 v112, 5, v13
	v_sub_nc_u32_e32 v51, v12, v51
	v_cmp_lt_i32_e32 vcc_lo, 15, v52
	v_lshlrev_b32_e32 v12, 4, v51
	v_add_co_ci_u32_e64 v53, null, 0, v53, vcc_lo
	v_lshl_add_u32 v13, v112, 9, v12
	v_sub_nc_u32_e32 v53, v53, v112
	v_sub_nc_u32_e32 v12, v48, v13
	v_cmpx_lt_i32_e32 15, v12
	s_cbranch_execz .LBB4_718
; %bb.715:                              ;   in Loop: Header=BB4_77 Depth=1
	v_add_nc_u32_e32 v13, v13, v49
	s_mov_b32 s46, 0
	v_ashrrev_i32_e32 v48, 31, v13
	.p2align	6
.LBB4_716:                              ;   Parent Loop BB4_77 Depth=1
                                        ; =>  This Inner Loop Header: Depth=2
	v_add_co_u32 v112, s19, v2, v13
	v_add_co_ci_u32_e64 v113, null, v3, v48, s19
	v_sub_nc_u32_e32 v12, v12, v81
	v_add_co_u32 v116, s19, v10, v13
	global_load_dwordx4 v[112:115], v[112:113], off slc
	v_add_co_ci_u32_e64 v117, null, v11, v48, s19
	v_cmp_gt_i32_e64 s19, 16, v12
	v_add_co_u32 v13, s20, v13, v101
	v_sub_nc_u32_e32 v53, v53, v66
	v_add_co_ci_u32_e64 v48, null, v48, v102, s20
	s_or_b32 s46, s19, s46
	s_waitcnt vmcnt(0)
	global_store_dwordx4 v[116:117], v[112:115], off glc slc
	s_andn2_b32 exec_lo, exec_lo, s46
	s_cbranch_execnz .LBB4_716
; %bb.717:                              ;   in Loop: Header=BB4_77 Depth=1
	s_or_b32 exec_lo, exec_lo, s46
.LBB4_718:                              ;   in Loop: Header=BB4_77 Depth=1
	s_or_b32 exec_lo, exec_lo, s45
	v_and_b32_e32 v113, 15, v39
	v_mov_b32_e32 v12, 0
	s_mov_b32 s20, 0
	s_mov_b32 s45, exec_lo
                                        ; implicit-def: $vgpr48
                                        ; implicit-def: $vgpr112
	v_cndmask_b32_e32 v13, v52, v113, vcc_lo
	v_cmpx_ne_u32_e32 0, v13
	s_cbranch_execz .LBB4_720
; %bb.719:                              ;   in Loop: Header=BB4_77 Depth=1
	v_cmp_lt_i32_e64 s19, 0, v53
	s_mov_b32 s20, exec_lo
	v_cndmask_b32_e64 v12, 0, v66, s19
	v_sub_nc_u32_e32 v12, v12, v53
	v_lshl_add_u32 v48, v12, 5, v51
	v_sub_nc_u32_e32 v51, v52, v113
	v_ashrrev_i32_e32 v12, 31, v48
	v_cndmask_b32_e32 v51, 0, v51, vcc_lo
	v_lshrrev_b32_e32 v12, 27, v12
	v_add_nc_u32_e32 v52, v48, v12
	v_add3_u32 v12, v50, v49, v51
	v_ashrrev_i32_e32 v112, 5, v52
.LBB4_720:                              ;   in Loop: Header=BB4_77 Depth=1
	s_or_b32 exec_lo, exec_lo, s45
	s_and_b32 s19, s20, exec_lo
.LBB4_721:                              ;   in Loop: Header=BB4_77 Depth=1
	s_or_b32 exec_lo, exec_lo, s43
.LBB4_722:                              ;   in Loop: Header=BB4_77 Depth=1
	s_and_saveexec_b32 s20, s19
	s_cbranch_execz .LBB4_731
; %bb.723:                              ;   in Loop: Header=BB4_77 Depth=1
	v_ashrrev_i32_e32 v49, 31, v13
	v_ashrrev_i32_e32 v50, 31, v48
	s_mov_b32 s19, exec_lo
	v_add_nc_u32_sdwa v49, v13, v49 dst_sel:DWORD dst_unused:UNUSED_PAD src0_sel:DWORD src1_sel:BYTE_3
	v_lshrrev_b32_e32 v50, 27, v50
	v_ashrrev_i32_e32 v51, 8, v49
	v_sub_nc_u32_e32 v49, v51, v112
	v_cmpx_lt_i32_e32 0, v49
	s_cbranch_execz .LBB4_727
; %bb.724:                              ;   in Loop: Header=BB4_77 Depth=1
	v_add_nc_u32_e32 v52, v48, v50
	v_lshlrev_b32_e32 v53, 8, v112
	s_mov_b32 s43, 0
	v_and_b32_e32 v52, 0xffffffe0, v52
	v_sub_nc_u32_e32 v52, v48, v52
	v_add3_u32 v52, v12, v52, v53
	v_ashrrev_i32_e32 v53, 31, v52
.LBB4_725:                              ;   Parent Loop BB4_77 Depth=1
                                        ; =>  This Inner Loop Header: Depth=2
	v_add_co_u32 v112, vcc_lo, v52, v2
	v_add_co_ci_u32_e64 v113, null, v53, v3, vcc_lo
	v_sub_nc_u32_e32 v49, v49, v66
	s_clause 0x7
	flat_load_ubyte v114, v[112:113] slc
	flat_load_ubyte v115, v[112:113] offset:32 slc
	flat_load_ubyte v116, v[112:113] offset:64 slc
	;; [unrolled: 1-line block ×7, first 2 shown]
	v_add_co_u32 v112, vcc_lo, v52, v10
	v_add_co_ci_u32_e64 v113, null, v53, v11, vcc_lo
	v_add_co_u32 v2, vcc_lo, v2, v82
	v_add_co_ci_u32_e64 v3, null, 0, v3, vcc_lo
	v_add_co_u32 v10, vcc_lo, v10, v82
	v_add_co_ci_u32_e64 v11, null, 0, v11, vcc_lo
	v_cmp_gt_i32_e32 vcc_lo, 1, v49
	s_waitcnt vmcnt(7) lgkmcnt(7)
	flat_store_byte v[112:113], v114 glc slc
	s_waitcnt vmcnt(6) lgkmcnt(7)
	flat_store_byte v[112:113], v115 offset:32 glc slc
	s_waitcnt vmcnt(5) lgkmcnt(7)
	flat_store_byte v[112:113], v116 offset:64 glc slc
	;; [unrolled: 2-line block ×7, first 2 shown]
	s_or_b32 s43, vcc_lo, s43
	s_andn2_b32 exec_lo, exec_lo, s43
	s_cbranch_execnz .LBB4_725
; %bb.726:                              ;   in Loop: Header=BB4_77 Depth=1
	s_or_b32 exec_lo, exec_lo, s43
.LBB4_727:                              ;   in Loop: Header=BB4_77 Depth=1
	s_or_b32 exec_lo, exec_lo, s19
	v_lshlrev_b32_e32 v2, 8, v51
	v_cmp_ne_u32_e32 vcc_lo, v13, v2
	s_and_b32 exec_lo, exec_lo, vcc_lo
	s_cbranch_execz .LBB4_731
; %bb.728:                              ;   in Loop: Header=BB4_77 Depth=1
	v_add_nc_u32_e32 v3, v48, v50
	v_lshlrev_b32_e32 v10, 5, v49
	v_and_b32_e32 v3, 0xffffffe0, v3
	v_sub_nc_u32_e32 v3, v48, v3
	v_sub_nc_u32_e32 v3, v3, v10
	v_add_nc_u32_e32 v11, v2, v3
	v_sub_nc_u32_e32 v10, v13, v11
	v_cmp_lt_i32_e32 vcc_lo, 0, v10
	s_and_b32 exec_lo, exec_lo, vcc_lo
	s_cbranch_execz .LBB4_731
; %bb.729:                              ;   in Loop: Header=BB4_77 Depth=1
	s_trap 2
	ds_read_b64 v[2:3], v0
	v_add_nc_u32_e32 v11, v11, v12
	s_mov_b32 s43, 0
	v_ashrrev_i32_e32 v12, 31, v11
	.p2align	6
.LBB4_730:                              ;   Parent Loop BB4_77 Depth=1
                                        ; =>  This Inner Loop Header: Depth=2
	s_waitcnt lgkmcnt(0)
	v_add_co_u32 v48, vcc_lo, v2, v11
	v_add_co_ci_u32_e64 v49, null, v3, v12, vcc_lo
	v_sub_nc_u32_e32 v10, v10, v69
	v_add_co_u32 v11, s19, v11, v97
	flat_load_ubyte v13, v[48:49] slc
	v_add_co_ci_u32_e64 v12, null, v12, v98, s19
	v_cmp_gt_i32_e32 vcc_lo, 1, v10
	s_or_b32 s43, vcc_lo, s43
	s_waitcnt vmcnt(0) lgkmcnt(0)
	flat_store_byte v[48:49], v13 glc slc
	s_andn2_b32 exec_lo, exec_lo, s43
	s_cbranch_execnz .LBB4_730
.LBB4_731:                              ;   in Loop: Header=BB4_77 Depth=1
	s_or_b32 exec_lo, exec_lo, s20
	v_cmp_lt_i32_e64 s19, 0, v39
	s_and_saveexec_b32 s20, s7
	s_cbranch_execnz .LBB4_737
.LBB4_732:                              ;   in Loop: Header=BB4_77 Depth=1
	s_or_b32 exec_lo, exec_lo, s20
	s_and_saveexec_b32 s20, s14
	s_xor_b32 s20, exec_lo, s20
	s_cbranch_execz .LBB4_804
.LBB4_733:                              ;   in Loop: Header=BB4_77 Depth=1
	v_and_b32_e32 v2, 16, v55
	v_cmp_ne_u32_e32 vcc_lo, 0, v2
	s_and_b32 s43, vcc_lo, s19
	s_and_saveexec_b32 s19, s43
	s_cbranch_execz .LBB4_735
; %bb.734:                              ;   in Loop: Header=BB4_77 Depth=1
	s_waitcnt vmcnt(0) lgkmcnt(0)
	s_waitcnt_vscnt null, 0x0
	buffer_gl1_inv
	buffer_gl0_inv
.LBB4_735:                              ;   in Loop: Header=BB4_77 Depth=1
	s_or_b32 exec_lo, exec_lo, s19
	s_andn2_saveexec_b32 s19, s20
	s_cbranch_execz .LBB4_846
	s_branch .LBB4_805
.LBB4_736:                              ;   in Loop: Header=BB4_77 Depth=1
	s_mov_b32 s19, 0
	s_and_saveexec_b32 s20, s7
	s_cbranch_execz .LBB4_732
.LBB4_737:                              ;   in Loop: Header=BB4_77 Depth=1
	s_and_saveexec_b32 s43, s27
	s_xor_b32 s43, exec_lo, s43
	s_cbranch_execz .LBB4_801
; %bb.738:                              ;   in Loop: Header=BB4_77 Depth=1
	s_and_saveexec_b32 s45, s12
	s_cbranch_execz .LBB4_800
; %bb.739:                              ;   in Loop: Header=BB4_77 Depth=1
	s_mov_b32 s47, exec_lo
	s_mov_b32 s46, exec_lo
	v_mbcnt_lo_u32_b32 v2, s47, 0
	s_waitcnt vmcnt(0) lgkmcnt(0)
	s_waitcnt_vscnt null, 0x0
	buffer_gl1_inv
	buffer_gl0_inv
	v_cmpx_eq_u32_e32 0, v2
	s_cbranch_execz .LBB4_741
; %bb.740:                              ;   in Loop: Header=BB4_77 Depth=1
	s_bcnt1_i32_b32 s47, s47
	v_mov_b32_e32 v3, v1
	v_mov_b32_e32 v2, s47
	ds_add_u64 v0, v[2:3]
	s_trap 2
.LBB4_741:                              ;   in Loop: Header=BB4_77 Depth=1
	s_or_b32 exec_lo, exec_lo, s46
	s_trap 2
	ds_read_b64 v[2:3], v0
	s_waitcnt lgkmcnt(0)
	buffer_gl0_inv
	v_add_co_u32 v24, vcc_lo, v24, v66
	v_add_co_ci_u32_e64 v25, null, 0, v25, vcc_lo
	s_mov_b32 s46, exec_lo
	v_cmpx_lt_u64_e64 v[2:3], v[24:25]
	s_cbranch_execz .LBB4_799
; %bb.742:                              ;   in Loop: Header=BB4_77 Depth=1
	s_mov_b32 s47, 0
	s_mov_b32 s58, 0
                                        ; implicit-def: $sgpr56
                                        ; implicit-def: $sgpr57
	s_inst_prefetch 0x1
	s_branch .LBB4_744
	.p2align	6
.LBB4_743:                              ;   in Loop: Header=BB4_744 Depth=2
	s_or_b32 exec_lo, exec_lo, s60
	s_and_b32 s59, exec_lo, s61
	s_or_b32 s47, s59, s47
	s_andn2_b32 s56, s56, exec_lo
	s_and_b32 s59, s57, exec_lo
	s_or_b32 s56, s56, s59
	s_andn2_b32 exec_lo, exec_lo, s47
	s_cbranch_execz .LBB4_797
.LBB4_744:                              ;   Parent Loop BB4_77 Depth=1
                                        ; =>  This Inner Loop Header: Depth=2
	s_add_i32 s58, s58, 1
	s_cmpk_lg_i32 s58, 0x2710
	s_cselect_b32 s59, -1, 0
	s_and_b32 vcc_lo, exec_lo, s59
	s_cbranch_vccz .LBB4_746
; %bb.745:                              ;   in Loop: Header=BB4_744 Depth=2
	s_mov_b32 s61, -1
	s_or_b32 s57, s57, exec_lo
	s_and_saveexec_b32 s60, s59
	s_cbranch_execz .LBB4_743
	s_branch .LBB4_747
	.p2align	6
.LBB4_746:                              ;   in Loop: Header=BB4_744 Depth=2
	s_trap 2
	ds_read_b64 v[2:3], v0
	s_andn2_b32 s59, s59, exec_lo
	s_mov_b32 s58, 0
	s_waitcnt lgkmcnt(0)
	flat_load_dword v2, v[2:3] glc dlc
	s_waitcnt vmcnt(0) lgkmcnt(0)
	buffer_gl1_inv
	buffer_gl0_inv
	v_cmp_eq_u32_e32 vcc_lo, 0, v2
	s_and_b32 s60, vcc_lo, exec_lo
	s_or_b32 s59, s59, s60
	s_mov_b32 s61, -1
	s_or_b32 s57, s57, exec_lo
	s_and_saveexec_b32 s60, s59
	s_cbranch_execz .LBB4_743
.LBB4_747:                              ;   in Loop: Header=BB4_744 Depth=2
	s_sleep 1
	s_trap 2
	ds_read_b64 v[2:3], v0
	s_waitcnt lgkmcnt(0)
	buffer_gl0_inv
	s_andn2_b32 s57, s57, exec_lo
	v_cmp_ge_u64_e32 vcc_lo, v[2:3], v[24:25]
	s_orn2_b32 s61, vcc_lo, exec_lo
	s_branch .LBB4_743
.LBB4_748:                              ;   in Loop: Header=BB4_77 Depth=1
	s_inst_prefetch 0x2
	s_or_b32 exec_lo, exec_lo, s47
	s_and_saveexec_b32 s47, s56
	s_xor_b32 s47, exec_lo, s47
	s_cbranch_execz .LBB4_750
; %bb.749:                              ;   in Loop: Header=BB4_77 Depth=1
	ds_write_b32 v0, v70
	s_trap 2
.LBB4_750:                              ;   in Loop: Header=BB4_77 Depth=1
	s_or_b32 exec_lo, exec_lo, s46
	;;#ASMSTART
	s_wakeup
	;;#ASMEND
.LBB4_751:                              ;   in Loop: Header=BB4_77 Depth=1
	s_or_b32 exec_lo, exec_lo, s45
.LBB4_752:                              ;   in Loop: Header=BB4_77 Depth=1
	s_andn2_saveexec_b32 s19, s19
	s_cbranch_execz .LBB4_754
; %bb.753:                              ;   in Loop: Header=BB4_77 Depth=1
	s_waitcnt vmcnt(0) lgkmcnt(0)
	s_waitcnt_vscnt null, 0x0
	buffer_gl1_inv
	buffer_gl0_inv
	s_barrier
.LBB4_754:                              ;   in Loop: Header=BB4_77 Depth=1
	s_or_b32 exec_lo, exec_lo, s19
.LBB4_755:                              ;   in Loop: Header=BB4_77 Depth=1
	s_or_b32 exec_lo, exec_lo, s18
	s_trap 2
	ds_read_b64 v[2:3], v0
	s_waitcnt lgkmcnt(0)
	v_cmp_eq_u64_e32 vcc_lo, 0, v[2:3]
	s_cbranch_vccnz .LBB4_785
; %bb.756:                              ;   in Loop: Header=BB4_77 Depth=1
	s_trap 2
	ds_read_b64 v[10:11], v0
	s_waitcnt lgkmcnt(0)
	v_cmp_eq_u64_e32 vcc_lo, 0, v[10:11]
	s_cbranch_vccnz .LBB4_785
; %bb.757:                              ;   in Loop: Header=BB4_77 Depth=1
	s_mov_b32 s18, -1
	s_and_saveexec_b32 s19, s16
	s_cbranch_execz .LBB4_759
; %bb.758:                              ;   in Loop: Header=BB4_77 Depth=1
	ds_read_b32 v13, v0 offset:720
	s_waitcnt lgkmcnt(0)
	v_and_b32_e32 v13, 15, v13
	v_cmp_eq_u32_e32 vcc_lo, 0, v13
	s_orn2_b32 s18, vcc_lo, exec_lo
.LBB4_759:                              ;   in Loop: Header=BB4_77 Depth=1
	s_or_b32 exec_lo, exec_lo, s19
	s_and_saveexec_b32 s19, s13
	s_cbranch_execz .LBB4_761
; %bb.760:                              ;   in Loop: Header=BB4_77 Depth=1
	ds_read_b32 v13, v0 offset:784
	s_waitcnt lgkmcnt(0)
	v_and_b32_e32 v13, 15, v13
	v_cmp_eq_u32_e32 vcc_lo, 0, v13
	s_and_b32 s45, s18, vcc_lo
	s_andn2_b32 s18, s18, exec_lo
	s_and_b32 s45, s45, exec_lo
	s_or_b32 s18, s18, s45
.LBB4_761:                              ;   in Loop: Header=BB4_77 Depth=1
	s_or_b32 exec_lo, exec_lo, s19
	v_cmp_eq_u32_e32 vcc_lo, 0, v12
	s_xor_b32 s18, s18, -1
	v_mov_b32_e32 v12, 0
	v_cndmask_b32_e64 v13, 0, 1, s18
	v_mov_b32_e32 v48, v0
	v_cndmask_b32_e32 v39, 0, v38, vcc_lo
	v_mov_b32_e32 v112, v87
	s_mov_b32 s18, -1
	v_cmp_ne_u32_e32 vcc_lo, 0, v13
	v_mov_b32_e32 v13, v39
	s_cbranch_vccnz .LBB4_775
; %bb.762:                              ;   in Loop: Header=BB4_77 Depth=1
	v_ashrrev_i32_e32 v12, 31, v39
	s_mov_b32 s19, exec_lo
	v_lshrrev_b32_e32 v12, 22, v12
	v_add_nc_u32_e32 v12, v39, v12
	v_ashrrev_i32_e32 v48, 10, v12
	v_sub_nc_u32_e32 v50, v48, v87
	v_cmpx_lt_i32_e32 0, v50
	s_cbranch_execz .LBB4_766
; %bb.763:                              ;   in Loop: Header=BB4_77 Depth=1
	v_mov_b32_e32 v12, v36
	v_mov_b32_e32 v13, v37
	s_mov_b32 s45, 0
	.p2align	6
.LBB4_764:                              ;   Parent Loop BB4_77 Depth=1
                                        ; =>  This Inner Loop Header: Depth=2
	v_add_co_u32 v51, vcc_lo, v2, v12
	v_add_co_ci_u32_e64 v52, null, v3, v13, vcc_lo
	v_sub_nc_u32_e32 v50, v50, v66
	s_clause 0x1
	global_load_dwordx4 v[112:115], v[51:52], off slc
	global_load_dwordx4 v[116:119], v[51:52], off offset:512 slc
	v_add_co_u32 v51, vcc_lo, v10, v12
	v_add_co_ci_u32_e64 v52, null, v11, v13, vcc_lo
	v_cmp_gt_i32_e32 vcc_lo, 1, v50
	v_add_co_u32 v12, s18, v12, v84
	v_add_co_ci_u32_e64 v13, null, 0, v13, s18
	s_or_b32 s45, vcc_lo, s45
	s_waitcnt vmcnt(1)
	global_store_dwordx4 v[51:52], v[112:115], off glc slc
	s_waitcnt vmcnt(0)
	global_store_dwordx4 v[51:52], v[116:119], off offset:512 glc slc
	s_andn2_b32 exec_lo, exec_lo, s45
	s_cbranch_execnz .LBB4_764
; %bb.765:                              ;   in Loop: Header=BB4_77 Depth=1
	s_or_b32 exec_lo, exec_lo, s45
.LBB4_766:                              ;   in Loop: Header=BB4_77 Depth=1
	s_or_b32 exec_lo, exec_lo, s19
	v_lshlrev_b32_e32 v49, 10, v48
	v_mov_b32_e32 v12, 0
	s_mov_b32 s18, 0
	s_mov_b32 s45, exec_lo
                                        ; implicit-def: $vgpr13
                                        ; implicit-def: $vgpr48
                                        ; implicit-def: $vgpr112
	v_cmpx_ne_u32_e64 v39, v49
	s_cbranch_execz .LBB4_774
; %bb.767:                              ;   in Loop: Header=BB4_77 Depth=1
	v_lshlrev_b32_e32 v12, 5, v50
	v_sub_nc_u32_e32 v48, v39, v49
	s_mov_b32 s46, exec_lo
	v_sub_nc_u32_e32 v12, v99, v12
	v_ashrrev_i32_e32 v50, 31, v48
	v_ashrrev_i32_e32 v13, 31, v12
	v_lshrrev_b32_e32 v50, 23, v50
	v_lshrrev_b32_e32 v13, 27, v13
	v_add_nc_u32_e32 v53, v48, v50
	v_add_nc_u32_e32 v13, v12, v13
	v_and_b32_e32 v50, 0xfffffe00, v53
	v_ashrrev_i32_e32 v53, 9, v53
	v_and_b32_e32 v51, 0xffffffe0, v13
	v_sub_nc_u32_e32 v52, v48, v50
	v_ashrrev_i32_e32 v112, 5, v13
	v_sub_nc_u32_e32 v51, v12, v51
	v_cmp_lt_i32_e32 vcc_lo, 15, v52
	v_lshlrev_b32_e32 v12, 4, v51
	v_add_co_ci_u32_e64 v53, null, 0, v53, vcc_lo
	v_lshl_add_u32 v13, v112, 9, v12
	v_sub_nc_u32_e32 v53, v53, v112
	v_sub_nc_u32_e32 v12, v48, v13
	v_cmpx_lt_i32_e32 15, v12
	s_cbranch_execz .LBB4_771
; %bb.768:                              ;   in Loop: Header=BB4_77 Depth=1
	v_add_nc_u32_e32 v13, v13, v49
	s_mov_b32 s47, 0
	v_ashrrev_i32_e32 v48, 31, v13
	.p2align	6
.LBB4_769:                              ;   Parent Loop BB4_77 Depth=1
                                        ; =>  This Inner Loop Header: Depth=2
	v_add_co_u32 v112, s18, v2, v13
	v_add_co_ci_u32_e64 v113, null, v3, v48, s18
	v_sub_nc_u32_e32 v12, v12, v81
	v_add_co_u32 v116, s18, v10, v13
	global_load_dwordx4 v[112:115], v[112:113], off slc
	v_add_co_ci_u32_e64 v117, null, v11, v48, s18
	v_cmp_gt_i32_e64 s18, 16, v12
	v_add_co_u32 v13, s19, v13, v101
	v_sub_nc_u32_e32 v53, v53, v66
	v_add_co_ci_u32_e64 v48, null, v48, v102, s19
	s_or_b32 s47, s18, s47
	s_waitcnt vmcnt(0)
	global_store_dwordx4 v[116:117], v[112:115], off glc slc
	s_andn2_b32 exec_lo, exec_lo, s47
	s_cbranch_execnz .LBB4_769
; %bb.770:                              ;   in Loop: Header=BB4_77 Depth=1
	s_or_b32 exec_lo, exec_lo, s47
.LBB4_771:                              ;   in Loop: Header=BB4_77 Depth=1
	s_or_b32 exec_lo, exec_lo, s46
	v_and_b32_e32 v113, 15, v39
	v_mov_b32_e32 v12, 0
	s_mov_b32 s19, 0
	s_mov_b32 s46, exec_lo
                                        ; implicit-def: $vgpr48
                                        ; implicit-def: $vgpr112
	v_cndmask_b32_e32 v13, v52, v113, vcc_lo
	v_cmpx_ne_u32_e32 0, v13
	s_cbranch_execz .LBB4_773
; %bb.772:                              ;   in Loop: Header=BB4_77 Depth=1
	v_cmp_lt_i32_e64 s18, 0, v53
	s_mov_b32 s19, exec_lo
	v_cndmask_b32_e64 v12, 0, v66, s18
	v_sub_nc_u32_e32 v12, v12, v53
	v_lshl_add_u32 v48, v12, 5, v51
	v_sub_nc_u32_e32 v51, v52, v113
	v_ashrrev_i32_e32 v12, 31, v48
	v_cndmask_b32_e32 v51, 0, v51, vcc_lo
	v_lshrrev_b32_e32 v12, 27, v12
	v_add_nc_u32_e32 v52, v48, v12
	v_add3_u32 v12, v50, v49, v51
	v_ashrrev_i32_e32 v112, 5, v52
.LBB4_773:                              ;   in Loop: Header=BB4_77 Depth=1
	s_or_b32 exec_lo, exec_lo, s46
	s_and_b32 s18, s19, exec_lo
.LBB4_774:                              ;   in Loop: Header=BB4_77 Depth=1
	s_or_b32 exec_lo, exec_lo, s45
.LBB4_775:                              ;   in Loop: Header=BB4_77 Depth=1
	s_and_saveexec_b32 s19, s18
	s_cbranch_execz .LBB4_784
; %bb.776:                              ;   in Loop: Header=BB4_77 Depth=1
	v_ashrrev_i32_e32 v49, 31, v13
	v_ashrrev_i32_e32 v50, 31, v48
	s_mov_b32 s18, exec_lo
	v_add_nc_u32_sdwa v49, v13, v49 dst_sel:DWORD dst_unused:UNUSED_PAD src0_sel:DWORD src1_sel:BYTE_3
	v_lshrrev_b32_e32 v50, 27, v50
	v_ashrrev_i32_e32 v51, 8, v49
	v_sub_nc_u32_e32 v49, v51, v112
	v_cmpx_lt_i32_e32 0, v49
	s_cbranch_execz .LBB4_780
; %bb.777:                              ;   in Loop: Header=BB4_77 Depth=1
	v_add_nc_u32_e32 v52, v48, v50
	v_lshlrev_b32_e32 v53, 8, v112
	s_mov_b32 s45, 0
	v_and_b32_e32 v52, 0xffffffe0, v52
	v_sub_nc_u32_e32 v52, v48, v52
	v_add3_u32 v52, v12, v52, v53
	v_ashrrev_i32_e32 v53, 31, v52
.LBB4_778:                              ;   Parent Loop BB4_77 Depth=1
                                        ; =>  This Inner Loop Header: Depth=2
	v_add_co_u32 v112, vcc_lo, v52, v2
	v_add_co_ci_u32_e64 v113, null, v53, v3, vcc_lo
	v_sub_nc_u32_e32 v49, v49, v66
	s_clause 0x7
	flat_load_ubyte v114, v[112:113] slc
	flat_load_ubyte v115, v[112:113] offset:32 slc
	flat_load_ubyte v116, v[112:113] offset:64 slc
	;; [unrolled: 1-line block ×7, first 2 shown]
	v_add_co_u32 v112, vcc_lo, v52, v10
	v_add_co_ci_u32_e64 v113, null, v53, v11, vcc_lo
	v_add_co_u32 v2, vcc_lo, v2, v82
	v_add_co_ci_u32_e64 v3, null, 0, v3, vcc_lo
	;; [unrolled: 2-line block ×3, first 2 shown]
	v_cmp_gt_i32_e32 vcc_lo, 1, v49
	s_waitcnt vmcnt(7) lgkmcnt(7)
	flat_store_byte v[112:113], v114 glc slc
	s_waitcnt vmcnt(6) lgkmcnt(7)
	flat_store_byte v[112:113], v115 offset:32 glc slc
	s_waitcnt vmcnt(5) lgkmcnt(7)
	flat_store_byte v[112:113], v116 offset:64 glc slc
	;; [unrolled: 2-line block ×7, first 2 shown]
	s_or_b32 s45, vcc_lo, s45
	s_andn2_b32 exec_lo, exec_lo, s45
	s_cbranch_execnz .LBB4_778
; %bb.779:                              ;   in Loop: Header=BB4_77 Depth=1
	s_or_b32 exec_lo, exec_lo, s45
.LBB4_780:                              ;   in Loop: Header=BB4_77 Depth=1
	s_or_b32 exec_lo, exec_lo, s18
	v_lshlrev_b32_e32 v2, 8, v51
	v_cmp_ne_u32_e32 vcc_lo, v13, v2
	s_and_b32 exec_lo, exec_lo, vcc_lo
	s_cbranch_execz .LBB4_784
; %bb.781:                              ;   in Loop: Header=BB4_77 Depth=1
	v_add_nc_u32_e32 v3, v48, v50
	v_lshlrev_b32_e32 v10, 5, v49
	v_and_b32_e32 v3, 0xffffffe0, v3
	v_sub_nc_u32_e32 v3, v48, v3
	v_sub_nc_u32_e32 v3, v3, v10
	v_add_nc_u32_e32 v11, v2, v3
	v_sub_nc_u32_e32 v10, v13, v11
	v_cmp_lt_i32_e32 vcc_lo, 0, v10
	s_and_b32 exec_lo, exec_lo, vcc_lo
	s_cbranch_execz .LBB4_784
; %bb.782:                              ;   in Loop: Header=BB4_77 Depth=1
	s_trap 2
	ds_read_b64 v[2:3], v0
	v_add_nc_u32_e32 v11, v11, v12
	s_mov_b32 s45, 0
	v_ashrrev_i32_e32 v12, 31, v11
	.p2align	6
.LBB4_783:                              ;   Parent Loop BB4_77 Depth=1
                                        ; =>  This Inner Loop Header: Depth=2
	s_waitcnt lgkmcnt(0)
	v_add_co_u32 v48, vcc_lo, v2, v11
	v_add_co_ci_u32_e64 v49, null, v3, v12, vcc_lo
	v_sub_nc_u32_e32 v10, v10, v69
	v_add_co_u32 v11, s18, v11, v97
	flat_load_ubyte v13, v[48:49] slc
	v_add_co_ci_u32_e64 v12, null, v12, v98, s18
	v_cmp_gt_i32_e32 vcc_lo, 1, v10
	s_or_b32 s45, vcc_lo, s45
	s_waitcnt vmcnt(0) lgkmcnt(0)
	flat_store_byte v[48:49], v13 glc slc
	s_andn2_b32 exec_lo, exec_lo, s45
	s_cbranch_execnz .LBB4_783
.LBB4_784:                              ;   in Loop: Header=BB4_77 Depth=1
	s_or_b32 exec_lo, exec_lo, s19
	v_cmp_lt_i32_e64 s18, 0, v39
	s_and_saveexec_b32 s19, s7
	s_cbranch_execnz .LBB4_786
	s_branch .LBB4_823
.LBB4_785:                              ;   in Loop: Header=BB4_77 Depth=1
	s_mov_b32 s18, 0
	s_and_saveexec_b32 s19, s7
	s_cbranch_execz .LBB4_823
.LBB4_786:                              ;   in Loop: Header=BB4_77 Depth=1
	s_and_saveexec_b32 s45, s27
	s_xor_b32 s45, exec_lo, s45
	s_cbranch_execz .LBB4_820
; %bb.787:                              ;   in Loop: Header=BB4_77 Depth=1
	s_and_saveexec_b32 s46, s12
	s_cbranch_execz .LBB4_819
; %bb.788:                              ;   in Loop: Header=BB4_77 Depth=1
	s_mov_b32 s56, exec_lo
	s_mov_b32 s47, exec_lo
	v_mbcnt_lo_u32_b32 v2, s56, 0
	s_waitcnt vmcnt(0) lgkmcnt(0)
	s_waitcnt_vscnt null, 0x0
	buffer_gl1_inv
	buffer_gl0_inv
	v_cmpx_eq_u32_e32 0, v2
	s_cbranch_execz .LBB4_790
; %bb.789:                              ;   in Loop: Header=BB4_77 Depth=1
	s_bcnt1_i32_b32 s56, s56
	v_mov_b32_e32 v3, v1
	v_mov_b32_e32 v2, s56
	ds_add_u64 v0, v[2:3]
	s_trap 2
.LBB4_790:                              ;   in Loop: Header=BB4_77 Depth=1
	s_or_b32 exec_lo, exec_lo, s47
	s_trap 2
	ds_read_b64 v[2:3], v0
	s_waitcnt lgkmcnt(0)
	buffer_gl0_inv
	v_add_co_u32 v24, vcc_lo, v24, v66
	v_add_co_ci_u32_e64 v25, null, 0, v25, vcc_lo
	s_mov_b32 s47, exec_lo
	v_cmpx_lt_u64_e64 v[2:3], v[24:25]
	s_cbranch_execz .LBB4_818
; %bb.791:                              ;   in Loop: Header=BB4_77 Depth=1
	s_mov_b32 s56, 0
	s_mov_b32 s59, 0
                                        ; implicit-def: $sgpr57
                                        ; implicit-def: $sgpr58
	s_inst_prefetch 0x1
	s_branch .LBB4_793
	.p2align	6
.LBB4_792:                              ;   in Loop: Header=BB4_793 Depth=2
	s_or_b32 exec_lo, exec_lo, s61
	s_and_b32 s60, exec_lo, s62
	s_or_b32 s56, s60, s56
	s_andn2_b32 s57, s57, exec_lo
	s_and_b32 s60, s58, exec_lo
	s_or_b32 s57, s57, s60
	s_andn2_b32 exec_lo, exec_lo, s56
	s_cbranch_execz .LBB4_816
.LBB4_793:                              ;   Parent Loop BB4_77 Depth=1
                                        ; =>  This Inner Loop Header: Depth=2
	s_add_i32 s59, s59, 1
	s_cmpk_lg_i32 s59, 0x2710
	s_cselect_b32 s60, -1, 0
	s_and_b32 vcc_lo, exec_lo, s60
	s_cbranch_vccz .LBB4_795
; %bb.794:                              ;   in Loop: Header=BB4_793 Depth=2
	s_mov_b32 s62, -1
	s_or_b32 s58, s58, exec_lo
	s_and_saveexec_b32 s61, s60
	s_cbranch_execz .LBB4_792
	s_branch .LBB4_796
	.p2align	6
.LBB4_795:                              ;   in Loop: Header=BB4_793 Depth=2
	s_trap 2
	ds_read_b64 v[2:3], v0
	s_andn2_b32 s60, s60, exec_lo
	s_mov_b32 s59, 0
	s_waitcnt lgkmcnt(0)
	flat_load_dword v2, v[2:3] glc dlc
	s_waitcnt vmcnt(0) lgkmcnt(0)
	buffer_gl1_inv
	buffer_gl0_inv
	v_cmp_eq_u32_e32 vcc_lo, 0, v2
	s_and_b32 s61, vcc_lo, exec_lo
	s_or_b32 s60, s60, s61
	s_mov_b32 s62, -1
	s_or_b32 s58, s58, exec_lo
	s_and_saveexec_b32 s61, s60
	s_cbranch_execz .LBB4_792
.LBB4_796:                              ;   in Loop: Header=BB4_793 Depth=2
	s_sleep 1
	s_trap 2
	ds_read_b64 v[2:3], v0
	s_waitcnt lgkmcnt(0)
	buffer_gl0_inv
	s_andn2_b32 s58, s58, exec_lo
	v_cmp_ge_u64_e32 vcc_lo, v[2:3], v[24:25]
	s_orn2_b32 s62, vcc_lo, exec_lo
	s_branch .LBB4_792
.LBB4_797:                              ;   in Loop: Header=BB4_77 Depth=1
	s_inst_prefetch 0x2
	s_or_b32 exec_lo, exec_lo, s47
	s_and_saveexec_b32 s47, s56
	s_xor_b32 s47, exec_lo, s47
	s_cbranch_execz .LBB4_799
; %bb.798:                              ;   in Loop: Header=BB4_77 Depth=1
	ds_write_b32 v0, v70
	s_trap 2
.LBB4_799:                              ;   in Loop: Header=BB4_77 Depth=1
	s_or_b32 exec_lo, exec_lo, s46
	;;#ASMSTART
	s_wakeup
	;;#ASMEND
.LBB4_800:                              ;   in Loop: Header=BB4_77 Depth=1
	s_or_b32 exec_lo, exec_lo, s45
.LBB4_801:                              ;   in Loop: Header=BB4_77 Depth=1
	s_andn2_saveexec_b32 s43, s43
	s_cbranch_execz .LBB4_803
; %bb.802:                              ;   in Loop: Header=BB4_77 Depth=1
	s_waitcnt vmcnt(0) lgkmcnt(0)
	s_waitcnt_vscnt null, 0x0
	buffer_gl1_inv
	buffer_gl0_inv
	s_barrier
.LBB4_803:                              ;   in Loop: Header=BB4_77 Depth=1
	s_or_b32 exec_lo, exec_lo, s43
	s_or_b32 exec_lo, exec_lo, s20
	s_and_saveexec_b32 s20, s14
	s_xor_b32 s20, exec_lo, s20
	s_cbranch_execnz .LBB4_733
.LBB4_804:                              ;   in Loop: Header=BB4_77 Depth=1
	s_andn2_saveexec_b32 s19, s20
	s_cbranch_execz .LBB4_846
.LBB4_805:                              ;   in Loop: Header=BB4_77 Depth=1
	s_and_saveexec_b32 s20, s27
	s_xor_b32 s20, exec_lo, s20
	s_cbranch_execz .LBB4_843
; %bb.806:                              ;   in Loop: Header=BB4_77 Depth=1
	s_and_saveexec_b32 s43, s12
	s_cbranch_execz .LBB4_842
; %bb.807:                              ;   in Loop: Header=BB4_77 Depth=1
	s_mov_b32 s46, exec_lo
	s_mov_b32 s45, exec_lo
	v_mbcnt_lo_u32_b32 v2, s46, 0
	;;#ASMSTART
	s_waitcnt lgkmcnt(0) vmcnt(0)
	;;#ASMEND
	v_cmpx_eq_u32_e32 0, v2
	s_cbranch_execz .LBB4_809
; %bb.808:                              ;   in Loop: Header=BB4_77 Depth=1
	s_bcnt1_i32_b32 s46, s46
	v_mov_b32_e32 v3, v1
	v_mov_b32_e32 v2, s46
	s_waitcnt vmcnt(0) lgkmcnt(0)
	s_waitcnt_vscnt null, 0x0
	ds_add_u64 v0, v[2:3]
	s_trap 2
.LBB4_809:                              ;   in Loop: Header=BB4_77 Depth=1
	s_or_b32 exec_lo, exec_lo, s45
	s_trap 2
	ds_read_b64 v[2:3], v0
	s_waitcnt vmcnt(0) lgkmcnt(0)
	buffer_gl0_inv
	v_add_co_u32 v24, vcc_lo, v24, v66
	v_add_co_ci_u32_e64 v25, null, 0, v25, vcc_lo
	s_mov_b32 s45, exec_lo
	v_cmpx_lt_u64_e64 v[2:3], v[24:25]
	s_cbranch_execz .LBB4_841
; %bb.810:                              ;   in Loop: Header=BB4_77 Depth=1
	s_mov_b32 s46, 0
	s_mov_b32 s57, 0
                                        ; implicit-def: $sgpr47
                                        ; implicit-def: $sgpr56
	s_inst_prefetch 0x1
	s_branch .LBB4_812
	.p2align	6
.LBB4_811:                              ;   in Loop: Header=BB4_812 Depth=2
	s_or_b32 exec_lo, exec_lo, s59
	s_and_b32 s58, exec_lo, s60
	s_or_b32 s46, s58, s46
	s_andn2_b32 s47, s47, exec_lo
	s_and_b32 s58, s56, exec_lo
	s_or_b32 s47, s47, s58
	s_andn2_b32 exec_lo, exec_lo, s46
	s_cbranch_execz .LBB4_839
.LBB4_812:                              ;   Parent Loop BB4_77 Depth=1
                                        ; =>  This Inner Loop Header: Depth=2
	s_add_i32 s57, s57, 1
	s_cmpk_lg_i32 s57, 0x2710
	s_cselect_b32 s58, -1, 0
	s_and_b32 vcc_lo, exec_lo, s58
	s_cbranch_vccz .LBB4_814
; %bb.813:                              ;   in Loop: Header=BB4_812 Depth=2
	s_mov_b32 s60, -1
	s_or_b32 s56, s56, exec_lo
	s_and_saveexec_b32 s59, s58
	s_cbranch_execz .LBB4_811
	s_branch .LBB4_815
	.p2align	6
.LBB4_814:                              ;   in Loop: Header=BB4_812 Depth=2
	s_trap 2
	ds_read_b64 v[2:3], v0
	s_andn2_b32 s58, s58, exec_lo
	s_mov_b32 s57, 0
	s_waitcnt lgkmcnt(0)
	s_waitcnt_vscnt null, 0x0
	flat_load_dword v2, v[2:3] glc dlc
	s_waitcnt vmcnt(0) lgkmcnt(0)
	buffer_gl1_inv
	buffer_gl0_inv
	v_cmp_eq_u32_e32 vcc_lo, 0, v2
	s_and_b32 s59, vcc_lo, exec_lo
	s_or_b32 s58, s58, s59
	s_mov_b32 s60, -1
	s_or_b32 s56, s56, exec_lo
	s_and_saveexec_b32 s59, s58
	s_cbranch_execz .LBB4_811
.LBB4_815:                              ;   in Loop: Header=BB4_812 Depth=2
	s_sleep 1
	s_trap 2
	ds_read_b64 v[2:3], v0
	s_waitcnt lgkmcnt(0)
	buffer_gl0_inv
	s_andn2_b32 s56, s56, exec_lo
	v_cmp_ge_u64_e32 vcc_lo, v[2:3], v[24:25]
	s_orn2_b32 s60, vcc_lo, exec_lo
	s_branch .LBB4_811
.LBB4_816:                              ;   in Loop: Header=BB4_77 Depth=1
	s_inst_prefetch 0x2
	s_or_b32 exec_lo, exec_lo, s56
	s_and_saveexec_b32 s56, s57
	s_xor_b32 s56, exec_lo, s56
	s_cbranch_execz .LBB4_818
; %bb.817:                              ;   in Loop: Header=BB4_77 Depth=1
	ds_write_b32 v0, v70
	s_trap 2
.LBB4_818:                              ;   in Loop: Header=BB4_77 Depth=1
	s_or_b32 exec_lo, exec_lo, s47
	;;#ASMSTART
	s_wakeup
	;;#ASMEND
.LBB4_819:                              ;   in Loop: Header=BB4_77 Depth=1
	s_or_b32 exec_lo, exec_lo, s46
.LBB4_820:                              ;   in Loop: Header=BB4_77 Depth=1
	s_andn2_saveexec_b32 s45, s45
	s_cbranch_execz .LBB4_822
; %bb.821:                              ;   in Loop: Header=BB4_77 Depth=1
	s_waitcnt vmcnt(0) lgkmcnt(0)
	s_waitcnt_vscnt null, 0x0
	buffer_gl1_inv
	buffer_gl0_inv
	s_barrier
.LBB4_822:                              ;   in Loop: Header=BB4_77 Depth=1
	s_or_b32 exec_lo, exec_lo, s45
.LBB4_823:                              ;   in Loop: Header=BB4_77 Depth=1
	s_or_b32 exec_lo, exec_lo, s19
	v_and_b32_e32 v2, 16, v55
	s_and_saveexec_b32 s19, s14
	s_xor_b32 s19, exec_lo, s19
	s_cbranch_execz .LBB4_827
; %bb.824:                              ;   in Loop: Header=BB4_77 Depth=1
	v_and_b32_e32 v2, 16, v55
	v_cmp_ne_u32_e32 vcc_lo, 0, v2
	v_and_b32_e32 v2, 16, v55
	s_and_b32 s45, vcc_lo, s18
	s_and_saveexec_b32 s18, s45
	s_cbranch_execz .LBB4_826
; %bb.825:                              ;   in Loop: Header=BB4_77 Depth=1
	v_mov_b32_e32 v2, 1
	s_waitcnt vmcnt(0) lgkmcnt(0)
	s_waitcnt_vscnt null, 0x0
	buffer_gl1_inv
	buffer_gl0_inv
.LBB4_826:                              ;   in Loop: Header=BB4_77 Depth=1
	s_or_b32 exec_lo, exec_lo, s18
.LBB4_827:                              ;   in Loop: Header=BB4_77 Depth=1
	s_andn2_saveexec_b32 s18, s19
	s_cbranch_execz .LBB4_895
; %bb.828:                              ;   in Loop: Header=BB4_77 Depth=1
	s_and_saveexec_b32 s19, s27
	s_xor_b32 s19, exec_lo, s19
	s_cbranch_execz .LBB4_892
; %bb.829:                              ;   in Loop: Header=BB4_77 Depth=1
	s_and_saveexec_b32 s45, s12
	s_cbranch_execz .LBB4_891
; %bb.830:                              ;   in Loop: Header=BB4_77 Depth=1
	s_mov_b32 s47, exec_lo
	s_mov_b32 s46, exec_lo
	v_mbcnt_lo_u32_b32 v3, s47, 0
	;;#ASMSTART
	s_waitcnt lgkmcnt(0) vmcnt(0)
	;;#ASMEND
	v_cmpx_eq_u32_e32 0, v3
	s_cbranch_execz .LBB4_832
; %bb.831:                              ;   in Loop: Header=BB4_77 Depth=1
	s_bcnt1_i32_b32 s47, s47
	v_mov_b32_e32 v11, v1
	v_mov_b32_e32 v10, s47
	s_waitcnt vmcnt(0) lgkmcnt(0)
	s_waitcnt_vscnt null, 0x0
	ds_add_u64 v0, v[10:11]
	s_trap 2
.LBB4_832:                              ;   in Loop: Header=BB4_77 Depth=1
	s_or_b32 exec_lo, exec_lo, s46
	s_trap 2
	ds_read_b64 v[10:11], v0
	s_waitcnt vmcnt(0) lgkmcnt(0)
	buffer_gl0_inv
	v_add_co_u32 v24, vcc_lo, v24, v66
	v_add_co_ci_u32_e64 v25, null, 0, v25, vcc_lo
	s_mov_b32 s46, exec_lo
	v_cmpx_lt_u64_e64 v[10:11], v[24:25]
	s_cbranch_execz .LBB4_890
; %bb.833:                              ;   in Loop: Header=BB4_77 Depth=1
	s_mov_b32 s47, 0
	s_mov_b32 s58, 0
                                        ; implicit-def: $sgpr56
                                        ; implicit-def: $sgpr57
	s_inst_prefetch 0x1
	s_branch .LBB4_835
	.p2align	6
.LBB4_834:                              ;   in Loop: Header=BB4_835 Depth=2
	s_or_b32 exec_lo, exec_lo, s60
	s_and_b32 s59, exec_lo, s61
	s_or_b32 s47, s59, s47
	s_andn2_b32 s56, s56, exec_lo
	s_and_b32 s59, s57, exec_lo
	s_or_b32 s56, s56, s59
	s_andn2_b32 exec_lo, exec_lo, s47
	s_cbranch_execz .LBB4_888
.LBB4_835:                              ;   Parent Loop BB4_77 Depth=1
                                        ; =>  This Inner Loop Header: Depth=2
	s_add_i32 s58, s58, 1
	s_cmpk_lg_i32 s58, 0x2710
	s_cselect_b32 s59, -1, 0
	s_and_b32 vcc_lo, exec_lo, s59
	s_cbranch_vccz .LBB4_837
; %bb.836:                              ;   in Loop: Header=BB4_835 Depth=2
	s_mov_b32 s61, -1
	s_or_b32 s57, s57, exec_lo
	s_and_saveexec_b32 s60, s59
	s_cbranch_execz .LBB4_834
	s_branch .LBB4_838
	.p2align	6
.LBB4_837:                              ;   in Loop: Header=BB4_835 Depth=2
	s_trap 2
	ds_read_b64 v[10:11], v0
	s_andn2_b32 s59, s59, exec_lo
	s_mov_b32 s58, 0
	s_waitcnt lgkmcnt(0)
	s_waitcnt_vscnt null, 0x0
	flat_load_dword v3, v[10:11] glc dlc
	s_waitcnt vmcnt(0) lgkmcnt(0)
	buffer_gl1_inv
	buffer_gl0_inv
	v_cmp_eq_u32_e32 vcc_lo, 0, v3
	s_and_b32 s60, vcc_lo, exec_lo
	s_or_b32 s59, s59, s60
	s_mov_b32 s61, -1
	s_or_b32 s57, s57, exec_lo
	s_and_saveexec_b32 s60, s59
	s_cbranch_execz .LBB4_834
.LBB4_838:                              ;   in Loop: Header=BB4_835 Depth=2
	s_sleep 1
	s_trap 2
	ds_read_b64 v[10:11], v0
	s_waitcnt lgkmcnt(0)
	buffer_gl0_inv
	s_andn2_b32 s57, s57, exec_lo
	v_cmp_ge_u64_e32 vcc_lo, v[10:11], v[24:25]
	s_orn2_b32 s61, vcc_lo, exec_lo
	s_branch .LBB4_834
.LBB4_839:                              ;   in Loop: Header=BB4_77 Depth=1
	s_inst_prefetch 0x2
	s_or_b32 exec_lo, exec_lo, s46
	s_and_saveexec_b32 s46, s47
	s_xor_b32 s46, exec_lo, s46
	s_cbranch_execz .LBB4_841
; %bb.840:                              ;   in Loop: Header=BB4_77 Depth=1
	ds_write_b32 v0, v70
	s_trap 2
.LBB4_841:                              ;   in Loop: Header=BB4_77 Depth=1
	s_or_b32 exec_lo, exec_lo, s45
	;;#ASMSTART
	s_wakeup
	;;#ASMEND
.LBB4_842:                              ;   in Loop: Header=BB4_77 Depth=1
	s_or_b32 exec_lo, exec_lo, s43
.LBB4_843:                              ;   in Loop: Header=BB4_77 Depth=1
	s_andn2_saveexec_b32 s20, s20
	s_cbranch_execz .LBB4_845
; %bb.844:                              ;   in Loop: Header=BB4_77 Depth=1
	;;#ASMSTART
	s_waitcnt lgkmcnt(0) vmcnt(0)
	;;#ASMEND
	s_barrier
.LBB4_845:                              ;   in Loop: Header=BB4_77 Depth=1
	s_or_b32 exec_lo, exec_lo, s20
.LBB4_846:                              ;   in Loop: Header=BB4_77 Depth=1
	s_or_b32 exec_lo, exec_lo, s19
	v_and_b32_e32 v2, 32, v55
	s_mov_b32 s19, exec_lo
	v_cmpx_ne_u32_e32 0, v2
	s_cbranch_execz .LBB4_848
; %bb.847:                              ;   in Loop: Header=BB4_77 Depth=1
	v_add_co_u32 v8, vcc_lo, v8, 1
	v_add_co_ci_u32_e64 v9, null, 0, v9, vcc_lo
	s_waitcnt vmcnt(0) lgkmcnt(0)
	s_waitcnt_vscnt null, 0x0
	flat_store_dwordx2 v[20:21], v[8:9]
.LBB4_848:                              ;   in Loop: Header=BB4_77 Depth=1
	s_or_b32 exec_lo, exec_lo, s19
	v_mov_b32_e32 v12, v38
.LBB4_849:                              ;   in Loop: Header=BB4_77 Depth=1
	s_or_b32 exec_lo, exec_lo, s23
	s_mov_b32 s19, s21
	s_and_saveexec_b32 s20, s17
	s_cbranch_execz .LBB4_999
; %bb.850:                              ;   in Loop: Header=BB4_77 Depth=1
	v_and_b32_e32 v2, 4, v55
	s_mov_b32 s23, exec_lo
	v_cmpx_ne_u32_e32 0, v2
	s_cbranch_execz .LBB4_860
; %bb.851:                              ;   in Loop: Header=BB4_77 Depth=1
	v_add_co_u32 v2, vcc_lo, v8, 1
	v_add_co_ci_u32_e64 v3, null, 0, v9, vcc_lo
	s_mov_b32 s43, exec_lo
	s_waitcnt vmcnt(0) lgkmcnt(1)
	v_cmpx_lt_u64_e64 v[28:29], v[2:3]
	s_cbranch_execz .LBB4_875
; %bb.852:                              ;   in Loop: Header=BB4_77 Depth=1
	v_and_b32_e32 v9, 64, v55
	s_mov_b32 s45, 0
	s_mov_b32 s57, 0
                                        ; implicit-def: $sgpr46
                                        ; implicit-def: $sgpr47
                                        ; implicit-def: $sgpr56
	v_cmp_eq_u32_e32 vcc_lo, 0, v9
	s_branch .LBB4_856
.LBB4_853:                              ;   in Loop: Header=BB4_856 Depth=2
	s_waitcnt vmcnt(0) lgkmcnt(0)
	v_cmp_ge_u64_e64 s19, v[28:29], v[2:3]
	s_or_b32 s60, s60, exec_lo
	s_orn2_b32 s59, s19, exec_lo
.LBB4_854:                              ;   in Loop: Header=BB4_856 Depth=2
	s_or_b32 exec_lo, exec_lo, s62
	s_andn2_b32 s19, s56, exec_lo
	s_and_b32 s56, s60, exec_lo
	s_andn2_b32 s47, s47, exec_lo
	s_and_b32 s59, s59, exec_lo
	s_or_b32 s56, s19, s56
	s_or_b32 s47, s47, s59
.LBB4_855:                              ;   in Loop: Header=BB4_856 Depth=2
	s_or_b32 exec_lo, exec_lo, s58
	s_and_b32 s19, exec_lo, s47
	s_or_b32 s45, s19, s45
	s_andn2_b32 s19, s46, exec_lo
	s_and_b32 s46, s56, exec_lo
	s_or_b32 s46, s19, s46
	s_andn2_b32 exec_lo, exec_lo, s45
	s_cbranch_execz .LBB4_872
.LBB4_856:                              ;   Parent Loop BB4_77 Depth=1
                                        ; =>  This Inner Loop Header: Depth=2
	s_sleep 1
	s_waitcnt vmcnt(0) lgkmcnt(0)
	flat_load_dwordx2 v[28:29], v[20:21] glc dlc
	s_or_b32 s56, s56, exec_lo
	s_or_b32 s47, s47, exec_lo
                                        ; implicit-def: $vgpr9
	s_and_saveexec_b32 s58, vcc_lo
	s_cbranch_execz .LBB4_855
; %bb.857:                              ;   in Loop: Header=BB4_856 Depth=2
	s_cmpk_lt_i32 s57, 0x270f
	s_mov_b32 s59, -1
	s_cselect_b32 s61, -1, 0
	s_cmpk_gt_i32 s57, 0x270e
	s_cbranch_scc0 .LBB4_859
; %bb.858:                              ;   in Loop: Header=BB4_856 Depth=2
	s_trap 2
	ds_read_b64 v[9:10], v0
	s_andn2_b32 s57, s61, exec_lo
	s_mov_b32 s60, 0
	s_waitcnt vmcnt(0) lgkmcnt(0)
	s_waitcnt_vscnt null, 0x0
	flat_load_dword v9, v[9:10] glc dlc
	s_waitcnt vmcnt(0) lgkmcnt(0)
	buffer_gl1_inv
	buffer_gl0_inv
	v_cmp_eq_u32_e64 s19, 0, v9
	s_and_b32 s19, s19, exec_lo
	s_or_b32 s61, s57, s19
	s_mov_b32 s57, 0
	s_and_saveexec_b32 s62, s61
	s_cbranch_execz .LBB4_854
	s_branch .LBB4_853
.LBB4_859:                              ;   in Loop: Header=BB4_856 Depth=2
	s_add_i32 s57, s57, 1
	s_mov_b32 s60, -1
                                        ; implicit-def: $vgpr9
	s_and_saveexec_b32 s62, s61
	s_cbranch_execz .LBB4_854
	s_branch .LBB4_853
.LBB4_860:                              ;   in Loop: Header=BB4_77 Depth=1
	s_or_b32 exec_lo, exec_lo, s23
	s_and_saveexec_b32 s19, s7
	s_cbranch_execz .LBB4_884
.LBB4_861:                              ;   in Loop: Header=BB4_77 Depth=1
	s_and_saveexec_b32 s23, s27
	s_xor_b32 s23, exec_lo, s23
	s_cbranch_execz .LBB4_951
; %bb.862:                              ;   in Loop: Header=BB4_77 Depth=1
	s_and_saveexec_b32 s43, s12
	s_cbranch_execz .LBB4_950
; %bb.863:                              ;   in Loop: Header=BB4_77 Depth=1
	s_mov_b32 s46, exec_lo
	s_mov_b32 s45, exec_lo
	v_mbcnt_lo_u32_b32 v2, s46, 0
	s_waitcnt vmcnt(0) lgkmcnt(0)
	s_waitcnt_vscnt null, 0x0
	buffer_gl1_inv
	buffer_gl0_inv
	v_cmpx_eq_u32_e32 0, v2
	s_cbranch_execz .LBB4_865
; %bb.864:                              ;   in Loop: Header=BB4_77 Depth=1
	s_bcnt1_i32_b32 s46, s46
	v_mov_b32_e32 v3, v1
	v_mov_b32_e32 v2, s46
	ds_add_u64 v0, v[2:3]
	s_trap 2
.LBB4_865:                              ;   in Loop: Header=BB4_77 Depth=1
	s_or_b32 exec_lo, exec_lo, s45
	s_trap 2
	ds_read_b64 v[2:3], v0
	s_waitcnt lgkmcnt(0)
	buffer_gl0_inv
	v_add_co_u32 v24, vcc_lo, v24, v66
	v_add_co_ci_u32_e64 v25, null, 0, v25, vcc_lo
	s_mov_b32 s45, exec_lo
	v_cmpx_lt_u64_e64 v[2:3], v[24:25]
	s_cbranch_execz .LBB4_949
; %bb.866:                              ;   in Loop: Header=BB4_77 Depth=1
	s_mov_b32 s46, 0
	s_mov_b32 s57, 0
                                        ; implicit-def: $sgpr47
                                        ; implicit-def: $sgpr56
	s_inst_prefetch 0x1
	s_branch .LBB4_868
	.p2align	6
.LBB4_867:                              ;   in Loop: Header=BB4_868 Depth=2
	s_or_b32 exec_lo, exec_lo, s59
	s_and_b32 s58, exec_lo, s60
	s_or_b32 s46, s58, s46
	s_andn2_b32 s47, s47, exec_lo
	s_and_b32 s58, s56, exec_lo
	s_or_b32 s47, s47, s58
	s_andn2_b32 exec_lo, exec_lo, s46
	s_cbranch_execz .LBB4_947
.LBB4_868:                              ;   Parent Loop BB4_77 Depth=1
                                        ; =>  This Inner Loop Header: Depth=2
	s_add_i32 s57, s57, 1
	s_cmpk_lg_i32 s57, 0x2710
	s_cselect_b32 s58, -1, 0
	s_and_b32 vcc_lo, exec_lo, s58
	s_cbranch_vccz .LBB4_870
; %bb.869:                              ;   in Loop: Header=BB4_868 Depth=2
	s_mov_b32 s60, -1
	s_or_b32 s56, s56, exec_lo
	s_and_saveexec_b32 s59, s58
	s_cbranch_execz .LBB4_867
	s_branch .LBB4_871
	.p2align	6
.LBB4_870:                              ;   in Loop: Header=BB4_868 Depth=2
	s_trap 2
	ds_read_b64 v[2:3], v0
	s_andn2_b32 s58, s58, exec_lo
	s_mov_b32 s57, 0
	s_waitcnt lgkmcnt(0)
	flat_load_dword v2, v[2:3] glc dlc
	s_waitcnt vmcnt(0) lgkmcnt(0)
	buffer_gl1_inv
	buffer_gl0_inv
	v_cmp_eq_u32_e32 vcc_lo, 0, v2
	s_and_b32 s59, vcc_lo, exec_lo
	s_or_b32 s58, s58, s59
	s_mov_b32 s60, -1
	s_or_b32 s56, s56, exec_lo
	s_and_saveexec_b32 s59, s58
	s_cbranch_execz .LBB4_867
.LBB4_871:                              ;   in Loop: Header=BB4_868 Depth=2
	s_sleep 1
	s_trap 2
	ds_read_b64 v[2:3], v0
	s_waitcnt lgkmcnt(0)
	buffer_gl0_inv
	s_andn2_b32 s56, s56, exec_lo
	v_cmp_ge_u64_e32 vcc_lo, v[2:3], v[24:25]
	s_orn2_b32 s60, vcc_lo, exec_lo
	s_branch .LBB4_867
.LBB4_872:                              ;   in Loop: Header=BB4_77 Depth=1
	s_or_b32 exec_lo, exec_lo, s45
	s_xor_b32 s19, s46, -1
	s_and_saveexec_b32 s45, s19
	s_xor_b32 s19, exec_lo, s45
	s_cbranch_execz .LBB4_874
; %bb.873:                              ;   in Loop: Header=BB4_77 Depth=1
	v_or_b32_e32 v55, 64, v55
	s_waitcnt vmcnt(0) lgkmcnt(0)
	s_waitcnt_vscnt null, 0x0
	ds_write_b32 v0, v9
	s_trap 2
.LBB4_874:                              ;   in Loop: Header=BB4_77 Depth=1
	s_or_b32 exec_lo, exec_lo, s19
.LBB4_875:                              ;   in Loop: Header=BB4_77 Depth=1
	s_or_b32 exec_lo, exec_lo, s43
	v_and_b32_e32 v9, 0x100, v55
	v_and_b32_e32 v13, 7, v8
	s_mov_b32 s19, -1
	;;#ASMSTART
	s_wakeup
	;;#ASMEND
	v_cmp_ne_u32_e32 vcc_lo, 0, v9
                                        ; implicit-def: $vgpr8_vgpr9
	s_and_saveexec_b32 s43, vcc_lo
	s_cbranch_execz .LBB4_879
; %bb.876:                              ;   in Loop: Header=BB4_77 Depth=1
	v_mad_u64_u32 v[10:11], null, v13, 24, v[6:7]
	flat_load_dword v8, v[10:11]
	s_waitcnt vmcnt(0) lgkmcnt(0)
	v_cmp_eq_u32_e64 s19, 1, v8
	v_cmp_ne_u32_e32 vcc_lo, 1, v8
                                        ; implicit-def: $vgpr8_vgpr9
	s_and_saveexec_b32 s45, s19
	s_cbranch_execz .LBB4_878
; %bb.877:                              ;   in Loop: Header=BB4_77 Depth=1
	flat_load_dword v8, v[10:11] offset:4 glc dlc
	s_waitcnt vmcnt(0) lgkmcnt(0)
	v_ashrrev_i32_e32 v9, 31, v8
.LBB4_878:                              ;   in Loop: Header=BB4_77 Depth=1
	s_or_b32 exec_lo, exec_lo, s45
	s_orn2_b32 s19, vcc_lo, exec_lo
.LBB4_879:                              ;   in Loop: Header=BB4_77 Depth=1
	s_or_b32 exec_lo, exec_lo, s43
	s_and_saveexec_b32 s43, s19
; %bb.880:                              ;   in Loop: Header=BB4_77 Depth=1
	v_mad_i64_i32 v[8:9], null, v13, v64, 0
; %bb.881:                              ;   in Loop: Header=BB4_77 Depth=1
	s_or_b32 exec_lo, exec_lo, s43
	v_add_co_u32 v8, vcc_lo, v22, v8
	v_and_b32_e32 v10, 0x2000, v55
	v_add_co_ci_u32_e64 v9, null, v23, v9, vcc_lo
	s_mov_b32 s19, exec_lo
	ds_write_b64 v0, v[8:9] offset:720
	v_cmpx_ne_u32_e32 0, v10
	s_cbranch_execz .LBB4_883
; %bb.882:                              ;   in Loop: Header=BB4_77 Depth=1
	ds_read_b64 v[8:9], v0 offset:872
	s_waitcnt lgkmcnt(0)
	v_add_co_u32 v8, vcc_lo, v8, 1
	v_add_co_ci_u32_e64 v9, null, 0, v9, vcc_lo
	ds_write_b64 v0, v[8:9] offset:872
.LBB4_883:                              ;   in Loop: Header=BB4_77 Depth=1
	s_or_b32 exec_lo, exec_lo, s19
	v_mov_b32_e32 v9, v3
	v_mov_b32_e32 v8, v2
	s_or_b32 exec_lo, exec_lo, s23
	s_and_saveexec_b32 s19, s7
	s_cbranch_execnz .LBB4_861
.LBB4_884:                              ;   in Loop: Header=BB4_77 Depth=1
	s_or_b32 exec_lo, exec_lo, s19
	s_and_saveexec_b32 s19, s14
	s_xor_b32 s23, exec_lo, s19
	s_cbranch_execz .LBB4_954
.LBB4_885:                              ;   in Loop: Header=BB4_77 Depth=1
	s_trap 2
	ds_read_b32 v2, v0
	v_sub_nc_u32_e32 v3, v103, v12
	v_min_i32_e32 v3, v38, v3
	v_cmp_lt_i32_e32 vcc_lo, 0, v3
	s_waitcnt lgkmcnt(0)
	v_readfirstlane_b32 s19, v2
	v_and_b32_e32 v2, 16, v55
	s_cmp_eq_u32 s19, 0
	v_cmp_ne_u32_e64 s19, 0, v2
	s_cselect_b32 s43, -1, 0
	s_and_b32 s43, vcc_lo, s43
	s_and_b32 s43, s19, s43
	s_and_saveexec_b32 s19, s43
	s_cbranch_execz .LBB4_887
; %bb.886:                              ;   in Loop: Header=BB4_77 Depth=1
	s_waitcnt vmcnt(0)
	s_waitcnt_vscnt null, 0x0
	buffer_gl1_inv
	buffer_gl0_inv
.LBB4_887:                              ;   in Loop: Header=BB4_77 Depth=1
	s_or_b32 exec_lo, exec_lo, s19
	s_andn2_saveexec_b32 s19, s23
	s_cbranch_execz .LBB4_998
	s_branch .LBB4_955
.LBB4_888:                              ;   in Loop: Header=BB4_77 Depth=1
	s_inst_prefetch 0x2
	s_or_b32 exec_lo, exec_lo, s47
	s_and_saveexec_b32 s47, s56
	s_xor_b32 s47, exec_lo, s47
	s_cbranch_execz .LBB4_890
; %bb.889:                              ;   in Loop: Header=BB4_77 Depth=1
	ds_write_b32 v0, v70
	s_trap 2
.LBB4_890:                              ;   in Loop: Header=BB4_77 Depth=1
	s_or_b32 exec_lo, exec_lo, s46
	;;#ASMSTART
	s_wakeup
	;;#ASMEND
.LBB4_891:                              ;   in Loop: Header=BB4_77 Depth=1
	s_or_b32 exec_lo, exec_lo, s45
.LBB4_892:                              ;   in Loop: Header=BB4_77 Depth=1
	s_andn2_saveexec_b32 s19, s19
	s_cbranch_execz .LBB4_894
; %bb.893:                              ;   in Loop: Header=BB4_77 Depth=1
	;;#ASMSTART
	s_waitcnt lgkmcnt(0) vmcnt(0)
	;;#ASMEND
	s_barrier
.LBB4_894:                              ;   in Loop: Header=BB4_77 Depth=1
	s_or_b32 exec_lo, exec_lo, s19
.LBB4_895:                              ;   in Loop: Header=BB4_77 Depth=1
	s_or_b32 exec_lo, exec_lo, s18
	s_mov_b32 s18, exec_lo
	v_cmpx_ne_u32_e32 0, v2
	s_cbranch_execz .LBB4_899
; %bb.896:                              ;   in Loop: Header=BB4_77 Depth=1
	s_and_saveexec_b32 s19, s11
	s_cbranch_execz .LBB4_898
; %bb.897:                              ;   in Loop: Header=BB4_77 Depth=1
	s_waitcnt vmcnt(0) lgkmcnt(0)
	s_waitcnt_vscnt null, 0x0
	flat_store_dword v[26:27], v70
.LBB4_898:                              ;   in Loop: Header=BB4_77 Depth=1
	s_or_b32 exec_lo, exec_lo, s19
	v_add_co_u32 v8, vcc_lo, v8, 1
	v_add_co_ci_u32_e64 v9, null, 0, v9, vcc_lo
	s_waitcnt vmcnt(0) lgkmcnt(0)
	s_waitcnt_vscnt null, 0x0
	flat_store_dwordx2 v[20:21], v[8:9]
.LBB4_899:                              ;   in Loop: Header=BB4_77 Depth=1
	s_or_b32 exec_lo, exec_lo, s18
	v_mov_b32_e32 v10, v38
.LBB4_900:                              ;   in Loop: Header=BB4_77 Depth=1
	s_or_b32 exec_lo, exec_lo, s23
	s_mov_b32 s19, s21
	s_mov_b32 s23, s20
	s_and_saveexec_b32 s18, s17
	s_cbranch_execz .LBB4_987
; %bb.901:                              ;   in Loop: Header=BB4_77 Depth=1
	v_sub_nc_u32_e32 v2, v103, v10
	v_and_b32_e32 v3, 8, v55
	s_mov_b32 s19, exec_lo
	v_min_i32_e32 v2, v38, v2
	v_cmpx_ne_u32_e32 0, v3
	s_cbranch_execz .LBB4_911
; %bb.902:                              ;   in Loop: Header=BB4_77 Depth=1
	s_waitcnt vmcnt(0) lgkmcnt(1)
	v_add_co_u32 v12, vcc_lo, v28, 8
	v_add_co_ci_u32_e64 v13, null, 0, v29, vcc_lo
	v_add_co_u32 v10, vcc_lo, v8, 1
	v_add_co_ci_u32_e64 v11, null, 0, v9, vcc_lo
	s_mov_b32 s23, exec_lo
	v_cmpx_lt_u64_e64 v[12:13], v[10:11]
	s_cbranch_execz .LBB4_927
; %bb.903:                              ;   in Loop: Header=BB4_77 Depth=1
	v_and_b32_e32 v3, 64, v55
	s_mov_b32 s45, 0
	s_mov_b32 s57, 0
                                        ; implicit-def: $sgpr46
                                        ; implicit-def: $sgpr47
                                        ; implicit-def: $sgpr56
	v_cmp_eq_u32_e32 vcc_lo, 0, v3
	s_branch .LBB4_907
.LBB4_904:                              ;   in Loop: Header=BB4_907 Depth=2
	s_waitcnt vmcnt(0) lgkmcnt(0)
	v_add_co_u32 v12, s17, v28, 8
	v_add_co_ci_u32_e64 v13, null, 0, v29, s17
	s_or_b32 s60, s60, exec_lo
	v_cmp_ge_u64_e64 s17, v[12:13], v[10:11]
	s_orn2_b32 s59, s17, exec_lo
.LBB4_905:                              ;   in Loop: Header=BB4_907 Depth=2
	s_or_b32 exec_lo, exec_lo, s62
	s_andn2_b32 s17, s56, exec_lo
	s_and_b32 s56, s60, exec_lo
	s_andn2_b32 s47, s47, exec_lo
	s_and_b32 s59, s59, exec_lo
	s_or_b32 s56, s17, s56
	s_or_b32 s47, s47, s59
.LBB4_906:                              ;   in Loop: Header=BB4_907 Depth=2
	s_or_b32 exec_lo, exec_lo, s58
	s_and_b32 s17, exec_lo, s47
	s_or_b32 s45, s17, s45
	s_andn2_b32 s17, s46, exec_lo
	s_and_b32 s46, s56, exec_lo
	s_or_b32 s46, s17, s46
	s_andn2_b32 exec_lo, exec_lo, s45
	s_cbranch_execz .LBB4_924
.LBB4_907:                              ;   Parent Loop BB4_77 Depth=1
                                        ; =>  This Inner Loop Header: Depth=2
	s_sleep 1
	s_waitcnt vmcnt(0) lgkmcnt(0)
	flat_load_dwordx2 v[28:29], v[20:21] glc dlc
	s_or_b32 s56, s56, exec_lo
	s_or_b32 s47, s47, exec_lo
                                        ; implicit-def: $vgpr3
	s_and_saveexec_b32 s58, vcc_lo
	s_cbranch_execz .LBB4_906
; %bb.908:                              ;   in Loop: Header=BB4_907 Depth=2
	s_cmpk_lt_i32 s57, 0x270f
	s_mov_b32 s59, -1
	s_cselect_b32 s61, -1, 0
	s_cmpk_gt_i32 s57, 0x270e
	s_cbranch_scc0 .LBB4_910
; %bb.909:                              ;   in Loop: Header=BB4_907 Depth=2
	s_trap 2
	ds_read_b64 v[12:13], v0
	s_andn2_b32 s57, s61, exec_lo
	s_mov_b32 s60, 0
	s_waitcnt vmcnt(0) lgkmcnt(0)
	s_waitcnt_vscnt null, 0x0
	flat_load_dword v3, v[12:13] glc dlc
	s_waitcnt vmcnt(0) lgkmcnt(0)
	buffer_gl1_inv
	buffer_gl0_inv
	v_cmp_eq_u32_e64 s17, 0, v3
	s_and_b32 s17, s17, exec_lo
	s_or_b32 s61, s57, s17
	s_mov_b32 s57, 0
	s_and_saveexec_b32 s62, s61
	s_cbranch_execz .LBB4_905
	s_branch .LBB4_904
.LBB4_910:                              ;   in Loop: Header=BB4_907 Depth=2
	s_add_i32 s57, s57, 1
	s_mov_b32 s60, -1
                                        ; implicit-def: $vgpr3
	s_and_saveexec_b32 s62, s61
	s_cbranch_execz .LBB4_905
	s_branch .LBB4_904
.LBB4_911:                              ;   in Loop: Header=BB4_77 Depth=1
	s_or_b32 exec_lo, exec_lo, s19
	s_and_saveexec_b32 s17, s7
	s_cbranch_execnz .LBB4_936
.LBB4_912:                              ;   in Loop: Header=BB4_77 Depth=1
	s_or_b32 exec_lo, exec_lo, s17
                                        ; implicit-def: $vgpr3
	s_and_saveexec_b32 s17, s41
	s_xor_b32 s17, exec_lo, s17
	s_cbranch_execz .LBB4_980
.LBB4_913:                              ;   in Loop: Header=BB4_77 Depth=1
	s_and_saveexec_b32 s19, s27
	s_xor_b32 s19, exec_lo, s19
	s_cbranch_execz .LBB4_970
; %bb.914:                              ;   in Loop: Header=BB4_77 Depth=1
	s_and_saveexec_b32 s23, s12
	s_cbranch_execz .LBB4_969
; %bb.915:                              ;   in Loop: Header=BB4_77 Depth=1
	s_mov_b32 s46, exec_lo
	s_mov_b32 s45, exec_lo
	v_mbcnt_lo_u32_b32 v2, s46, 0
	;;#ASMSTART
	s_waitcnt lgkmcnt(0) vmcnt(0)
	;;#ASMEND
	v_cmpx_eq_u32_e32 0, v2
	s_cbranch_execz .LBB4_917
; %bb.916:                              ;   in Loop: Header=BB4_77 Depth=1
	s_bcnt1_i32_b32 s46, s46
	v_mov_b32_e32 v3, v1
	v_mov_b32_e32 v2, s46
	s_waitcnt vmcnt(0) lgkmcnt(0)
	s_waitcnt_vscnt null, 0x0
	ds_add_u64 v0, v[2:3]
	s_trap 2
.LBB4_917:                              ;   in Loop: Header=BB4_77 Depth=1
	s_or_b32 exec_lo, exec_lo, s45
	s_trap 2
	ds_read_b64 v[2:3], v0
	s_waitcnt vmcnt(0) lgkmcnt(0)
	buffer_gl0_inv
	v_add_co_u32 v24, vcc_lo, v24, v66
	v_add_co_ci_u32_e64 v25, null, 0, v25, vcc_lo
	s_mov_b32 s45, exec_lo
	v_cmpx_lt_u64_e64 v[2:3], v[24:25]
	s_cbranch_execz .LBB4_968
; %bb.918:                              ;   in Loop: Header=BB4_77 Depth=1
	s_mov_b32 s46, 0
	s_mov_b32 s57, 0
                                        ; implicit-def: $sgpr47
                                        ; implicit-def: $sgpr56
	s_inst_prefetch 0x1
	s_branch .LBB4_920
	.p2align	6
.LBB4_919:                              ;   in Loop: Header=BB4_920 Depth=2
	s_or_b32 exec_lo, exec_lo, s59
	s_and_b32 s58, exec_lo, s60
	s_or_b32 s46, s58, s46
	s_andn2_b32 s47, s47, exec_lo
	s_and_b32 s58, s56, exec_lo
	s_or_b32 s47, s47, s58
	s_andn2_b32 exec_lo, exec_lo, s46
	s_cbranch_execz .LBB4_966
.LBB4_920:                              ;   Parent Loop BB4_77 Depth=1
                                        ; =>  This Inner Loop Header: Depth=2
	s_add_i32 s57, s57, 1
	s_cmpk_lg_i32 s57, 0x2710
	s_cselect_b32 s58, -1, 0
	s_and_b32 vcc_lo, exec_lo, s58
	s_cbranch_vccz .LBB4_922
; %bb.921:                              ;   in Loop: Header=BB4_920 Depth=2
	s_mov_b32 s60, -1
	s_or_b32 s56, s56, exec_lo
	s_and_saveexec_b32 s59, s58
	s_cbranch_execz .LBB4_919
	s_branch .LBB4_923
	.p2align	6
.LBB4_922:                              ;   in Loop: Header=BB4_920 Depth=2
	s_trap 2
	ds_read_b64 v[2:3], v0
	s_andn2_b32 s58, s58, exec_lo
	s_mov_b32 s57, 0
	s_waitcnt lgkmcnt(0)
	s_waitcnt_vscnt null, 0x0
	flat_load_dword v2, v[2:3] glc dlc
	s_waitcnt vmcnt(0) lgkmcnt(0)
	buffer_gl1_inv
	buffer_gl0_inv
	v_cmp_eq_u32_e32 vcc_lo, 0, v2
	s_and_b32 s59, vcc_lo, exec_lo
	s_or_b32 s58, s58, s59
	s_mov_b32 s60, -1
	s_or_b32 s56, s56, exec_lo
	s_and_saveexec_b32 s59, s58
	s_cbranch_execz .LBB4_919
.LBB4_923:                              ;   in Loop: Header=BB4_920 Depth=2
	s_sleep 1
	s_trap 2
	ds_read_b64 v[2:3], v0
	s_waitcnt lgkmcnt(0)
	buffer_gl0_inv
	s_andn2_b32 s56, s56, exec_lo
	v_cmp_ge_u64_e32 vcc_lo, v[2:3], v[24:25]
	s_orn2_b32 s60, vcc_lo, exec_lo
	s_branch .LBB4_919
.LBB4_924:                              ;   in Loop: Header=BB4_77 Depth=1
	s_or_b32 exec_lo, exec_lo, s45
	s_xor_b32 s17, s46, -1
	s_and_saveexec_b32 s45, s17
	s_xor_b32 s17, exec_lo, s45
	s_cbranch_execz .LBB4_926
; %bb.925:                              ;   in Loop: Header=BB4_77 Depth=1
	v_or_b32_e32 v55, 64, v55
	s_waitcnt vmcnt(0) lgkmcnt(0)
	s_waitcnt_vscnt null, 0x0
	ds_write_b32 v0, v3
	s_trap 2
.LBB4_926:                              ;   in Loop: Header=BB4_77 Depth=1
	s_or_b32 exec_lo, exec_lo, s17
.LBB4_927:                              ;   in Loop: Header=BB4_77 Depth=1
	s_or_b32 exec_lo, exec_lo, s23
	v_and_b32_e32 v3, 0x100, v55
	v_and_b32_e32 v38, 7, v8
	s_mov_b32 s17, -1
	s_mov_b32 s23, exec_lo
	;;#ASMSTART
	s_wakeup
	;;#ASMEND
                                        ; implicit-def: $vgpr8_vgpr9
	v_cmpx_ne_u32_e32 0, v3
	s_cbranch_execz .LBB4_931
; %bb.928:                              ;   in Loop: Header=BB4_77 Depth=1
	v_mad_u64_u32 v[12:13], null, v38, 24, v[6:7]
	v_ashrrev_i32_e32 v3, 31, v2
	flat_load_dword v8, v[12:13]
	flat_store_dwordx2 v[12:13], v[2:3] offset:8
	s_waitcnt vmcnt(0) lgkmcnt(1)
	v_cmp_eq_u32_e64 s17, 1, v8
	v_cmp_ne_u32_e32 vcc_lo, 1, v8
                                        ; implicit-def: $vgpr8_vgpr9
	s_and_saveexec_b32 s45, s17
	s_cbranch_execz .LBB4_930
; %bb.929:                              ;   in Loop: Header=BB4_77 Depth=1
	flat_load_dword v8, v[12:13] offset:4 glc dlc
	s_waitcnt vmcnt(0) lgkmcnt(0)
	v_ashrrev_i32_e32 v9, 31, v8
.LBB4_930:                              ;   in Loop: Header=BB4_77 Depth=1
	s_or_b32 exec_lo, exec_lo, s45
	s_orn2_b32 s17, vcc_lo, exec_lo
.LBB4_931:                              ;   in Loop: Header=BB4_77 Depth=1
	s_or_b32 exec_lo, exec_lo, s23
	s_and_saveexec_b32 s23, s17
; %bb.932:                              ;   in Loop: Header=BB4_77 Depth=1
	v_mad_i64_i32 v[8:9], null, v38, v64, 0
; %bb.933:                              ;   in Loop: Header=BB4_77 Depth=1
	s_or_b32 exec_lo, exec_lo, s23
	v_add_co_u32 v8, vcc_lo, v22, v8
	v_and_b32_e32 v3, 0x2000, v55
	v_add_co_ci_u32_e64 v9, null, v23, v9, vcc_lo
	s_mov_b32 s17, exec_lo
	ds_write_b64 v0, v[8:9] offset:784
	v_cmpx_ne_u32_e32 0, v3
	s_cbranch_execz .LBB4_935
; %bb.934:                              ;   in Loop: Header=BB4_77 Depth=1
	ds_read_b64 v[8:9], v0 offset:872
	s_waitcnt lgkmcnt(0)
	v_add_co_u32 v8, vcc_lo, v8, 1
	v_add_co_ci_u32_e64 v9, null, 0, v9, vcc_lo
	ds_write_b64 v0, v[8:9] offset:872
.LBB4_935:                              ;   in Loop: Header=BB4_77 Depth=1
	s_or_b32 exec_lo, exec_lo, s17
	v_mov_b32_e32 v8, v10
	v_mov_b32_e32 v9, v11
	s_or_b32 exec_lo, exec_lo, s19
	s_and_saveexec_b32 s17, s7
	s_cbranch_execz .LBB4_912
.LBB4_936:                              ;   in Loop: Header=BB4_77 Depth=1
	s_and_saveexec_b32 s19, s27
	s_xor_b32 s19, exec_lo, s19
	s_cbranch_execz .LBB4_977
; %bb.937:                              ;   in Loop: Header=BB4_77 Depth=1
	s_and_saveexec_b32 s23, s12
	s_cbranch_execz .LBB4_976
; %bb.938:                              ;   in Loop: Header=BB4_77 Depth=1
	s_mov_b32 s46, exec_lo
	s_mov_b32 s45, exec_lo
	v_mbcnt_lo_u32_b32 v3, s46, 0
	s_waitcnt vmcnt(0) lgkmcnt(0)
	s_waitcnt_vscnt null, 0x0
	buffer_gl1_inv
	buffer_gl0_inv
	v_cmpx_eq_u32_e32 0, v3
	s_cbranch_execz .LBB4_940
; %bb.939:                              ;   in Loop: Header=BB4_77 Depth=1
	s_bcnt1_i32_b32 s46, s46
	v_mov_b32_e32 v11, v1
	v_mov_b32_e32 v10, s46
	ds_add_u64 v0, v[10:11]
	s_trap 2
.LBB4_940:                              ;   in Loop: Header=BB4_77 Depth=1
	s_or_b32 exec_lo, exec_lo, s45
	s_trap 2
	ds_read_b64 v[10:11], v0
	s_waitcnt lgkmcnt(0)
	buffer_gl0_inv
	v_add_co_u32 v24, vcc_lo, v24, v66
	v_add_co_ci_u32_e64 v25, null, 0, v25, vcc_lo
	s_mov_b32 s45, exec_lo
	v_cmpx_lt_u64_e64 v[10:11], v[24:25]
	s_cbranch_execz .LBB4_975
; %bb.941:                              ;   in Loop: Header=BB4_77 Depth=1
	s_mov_b32 s46, 0
	s_mov_b32 s57, 0
                                        ; implicit-def: $sgpr47
                                        ; implicit-def: $sgpr56
	s_inst_prefetch 0x1
	s_branch .LBB4_943
	.p2align	6
.LBB4_942:                              ;   in Loop: Header=BB4_943 Depth=2
	s_or_b32 exec_lo, exec_lo, s59
	s_and_b32 s58, exec_lo, s60
	s_or_b32 s46, s58, s46
	s_andn2_b32 s47, s47, exec_lo
	s_and_b32 s58, s56, exec_lo
	s_or_b32 s47, s47, s58
	s_andn2_b32 exec_lo, exec_lo, s46
	s_cbranch_execz .LBB4_973
.LBB4_943:                              ;   Parent Loop BB4_77 Depth=1
                                        ; =>  This Inner Loop Header: Depth=2
	s_add_i32 s57, s57, 1
	s_cmpk_lg_i32 s57, 0x2710
	s_cselect_b32 s58, -1, 0
	s_and_b32 vcc_lo, exec_lo, s58
	s_cbranch_vccz .LBB4_945
; %bb.944:                              ;   in Loop: Header=BB4_943 Depth=2
	s_mov_b32 s60, -1
	s_or_b32 s56, s56, exec_lo
	s_and_saveexec_b32 s59, s58
	s_cbranch_execz .LBB4_942
	s_branch .LBB4_946
	.p2align	6
.LBB4_945:                              ;   in Loop: Header=BB4_943 Depth=2
	s_trap 2
	ds_read_b64 v[10:11], v0
	s_andn2_b32 s58, s58, exec_lo
	s_mov_b32 s57, 0
	s_waitcnt lgkmcnt(0)
	flat_load_dword v3, v[10:11] glc dlc
	s_waitcnt vmcnt(0) lgkmcnt(0)
	buffer_gl1_inv
	buffer_gl0_inv
	v_cmp_eq_u32_e32 vcc_lo, 0, v3
	s_and_b32 s59, vcc_lo, exec_lo
	s_or_b32 s58, s58, s59
	s_mov_b32 s60, -1
	s_or_b32 s56, s56, exec_lo
	s_and_saveexec_b32 s59, s58
	s_cbranch_execz .LBB4_942
.LBB4_946:                              ;   in Loop: Header=BB4_943 Depth=2
	s_sleep 1
	s_trap 2
	ds_read_b64 v[10:11], v0
	s_waitcnt lgkmcnt(0)
	buffer_gl0_inv
	s_andn2_b32 s56, s56, exec_lo
	v_cmp_ge_u64_e32 vcc_lo, v[10:11], v[24:25]
	s_orn2_b32 s60, vcc_lo, exec_lo
	s_branch .LBB4_942
.LBB4_947:                              ;   in Loop: Header=BB4_77 Depth=1
	s_inst_prefetch 0x2
	s_or_b32 exec_lo, exec_lo, s46
	s_and_saveexec_b32 s46, s47
	s_xor_b32 s46, exec_lo, s46
	s_cbranch_execz .LBB4_949
; %bb.948:                              ;   in Loop: Header=BB4_77 Depth=1
	ds_write_b32 v0, v70
	s_trap 2
.LBB4_949:                              ;   in Loop: Header=BB4_77 Depth=1
	s_or_b32 exec_lo, exec_lo, s45
	;;#ASMSTART
	s_wakeup
	;;#ASMEND
.LBB4_950:                              ;   in Loop: Header=BB4_77 Depth=1
	s_or_b32 exec_lo, exec_lo, s43
.LBB4_951:                              ;   in Loop: Header=BB4_77 Depth=1
	s_andn2_saveexec_b32 s23, s23
	s_cbranch_execz .LBB4_953
; %bb.952:                              ;   in Loop: Header=BB4_77 Depth=1
	s_waitcnt vmcnt(0) lgkmcnt(0)
	s_waitcnt_vscnt null, 0x0
	buffer_gl1_inv
	buffer_gl0_inv
	s_barrier
.LBB4_953:                              ;   in Loop: Header=BB4_77 Depth=1
	s_or_b32 exec_lo, exec_lo, s23
	s_or_b32 exec_lo, exec_lo, s19
	s_and_saveexec_b32 s19, s14
	s_xor_b32 s23, exec_lo, s19
	s_cbranch_execnz .LBB4_885
.LBB4_954:                              ;   in Loop: Header=BB4_77 Depth=1
	s_andn2_saveexec_b32 s19, s23
	s_cbranch_execz .LBB4_998
.LBB4_955:                              ;   in Loop: Header=BB4_77 Depth=1
	s_and_saveexec_b32 s23, s27
	s_xor_b32 s23, exec_lo, s23
	s_cbranch_execz .LBB4_995
; %bb.956:                              ;   in Loop: Header=BB4_77 Depth=1
	s_and_saveexec_b32 s43, s12
	s_cbranch_execz .LBB4_994
; %bb.957:                              ;   in Loop: Header=BB4_77 Depth=1
	s_mov_b32 s46, exec_lo
	s_mov_b32 s45, exec_lo
	v_mbcnt_lo_u32_b32 v2, s46, 0
	;;#ASMSTART
	s_waitcnt lgkmcnt(0) vmcnt(0)
	;;#ASMEND
	v_cmpx_eq_u32_e32 0, v2
	s_cbranch_execz .LBB4_959
; %bb.958:                              ;   in Loop: Header=BB4_77 Depth=1
	s_bcnt1_i32_b32 s46, s46
	v_mov_b32_e32 v3, v1
	v_mov_b32_e32 v2, s46
	s_waitcnt vmcnt(0) lgkmcnt(0)
	s_waitcnt_vscnt null, 0x0
	ds_add_u64 v0, v[2:3]
	s_trap 2
.LBB4_959:                              ;   in Loop: Header=BB4_77 Depth=1
	s_or_b32 exec_lo, exec_lo, s45
	s_trap 2
	ds_read_b64 v[2:3], v0
	s_waitcnt vmcnt(0) lgkmcnt(0)
	buffer_gl0_inv
	v_add_co_u32 v24, vcc_lo, v24, v66
	v_add_co_ci_u32_e64 v25, null, 0, v25, vcc_lo
	s_mov_b32 s45, exec_lo
	v_cmpx_lt_u64_e64 v[2:3], v[24:25]
	s_cbranch_execz .LBB4_993
; %bb.960:                              ;   in Loop: Header=BB4_77 Depth=1
	s_mov_b32 s46, 0
	s_mov_b32 s57, 0
                                        ; implicit-def: $sgpr47
                                        ; implicit-def: $sgpr56
	s_inst_prefetch 0x1
	s_branch .LBB4_962
	.p2align	6
.LBB4_961:                              ;   in Loop: Header=BB4_962 Depth=2
	s_or_b32 exec_lo, exec_lo, s59
	s_and_b32 s58, exec_lo, s60
	s_or_b32 s46, s58, s46
	s_andn2_b32 s47, s47, exec_lo
	s_and_b32 s58, s56, exec_lo
	s_or_b32 s47, s47, s58
	s_andn2_b32 exec_lo, exec_lo, s46
	s_cbranch_execz .LBB4_991
.LBB4_962:                              ;   Parent Loop BB4_77 Depth=1
                                        ; =>  This Inner Loop Header: Depth=2
	s_add_i32 s57, s57, 1
	s_cmpk_lg_i32 s57, 0x2710
	s_cselect_b32 s58, -1, 0
	s_and_b32 vcc_lo, exec_lo, s58
	s_cbranch_vccz .LBB4_964
; %bb.963:                              ;   in Loop: Header=BB4_962 Depth=2
	s_mov_b32 s60, -1
	s_or_b32 s56, s56, exec_lo
	s_and_saveexec_b32 s59, s58
	s_cbranch_execz .LBB4_961
	s_branch .LBB4_965
	.p2align	6
.LBB4_964:                              ;   in Loop: Header=BB4_962 Depth=2
	s_trap 2
	ds_read_b64 v[2:3], v0
	s_andn2_b32 s58, s58, exec_lo
	s_mov_b32 s57, 0
	s_waitcnt lgkmcnt(0)
	s_waitcnt_vscnt null, 0x0
	flat_load_dword v2, v[2:3] glc dlc
	s_waitcnt vmcnt(0) lgkmcnt(0)
	buffer_gl1_inv
	buffer_gl0_inv
	v_cmp_eq_u32_e32 vcc_lo, 0, v2
	s_and_b32 s59, vcc_lo, exec_lo
	s_or_b32 s58, s58, s59
	s_mov_b32 s60, -1
	s_or_b32 s56, s56, exec_lo
	s_and_saveexec_b32 s59, s58
	s_cbranch_execz .LBB4_961
.LBB4_965:                              ;   in Loop: Header=BB4_962 Depth=2
	s_sleep 1
	s_trap 2
	ds_read_b64 v[2:3], v0
	s_waitcnt lgkmcnt(0)
	buffer_gl0_inv
	s_andn2_b32 s56, s56, exec_lo
	v_cmp_ge_u64_e32 vcc_lo, v[2:3], v[24:25]
	s_orn2_b32 s60, vcc_lo, exec_lo
	s_branch .LBB4_961
.LBB4_966:                              ;   in Loop: Header=BB4_77 Depth=1
	s_inst_prefetch 0x2
	s_or_b32 exec_lo, exec_lo, s46
	s_and_saveexec_b32 s46, s47
	s_xor_b32 s46, exec_lo, s46
	s_cbranch_execz .LBB4_968
; %bb.967:                              ;   in Loop: Header=BB4_77 Depth=1
	ds_write_b32 v0, v70
	s_trap 2
.LBB4_968:                              ;   in Loop: Header=BB4_77 Depth=1
	s_or_b32 exec_lo, exec_lo, s45
	;;#ASMSTART
	s_wakeup
	;;#ASMEND
.LBB4_969:                              ;   in Loop: Header=BB4_77 Depth=1
	s_or_b32 exec_lo, exec_lo, s23
.LBB4_970:                              ;   in Loop: Header=BB4_77 Depth=1
	s_andn2_saveexec_b32 s19, s19
	s_cbranch_execz .LBB4_972
; %bb.971:                              ;   in Loop: Header=BB4_77 Depth=1
	;;#ASMSTART
	s_waitcnt lgkmcnt(0) vmcnt(0)
	;;#ASMEND
	s_barrier
.LBB4_972:                              ;   in Loop: Header=BB4_77 Depth=1
	s_or_b32 exec_lo, exec_lo, s19
	v_and_b32_e32 v3, 16, v55
                                        ; implicit-def: $vgpr2
	s_andn2_saveexec_b32 s19, s17
	s_cbranch_execz .LBB4_984
	s_branch .LBB4_981
.LBB4_973:                              ;   in Loop: Header=BB4_77 Depth=1
	s_inst_prefetch 0x2
	s_or_b32 exec_lo, exec_lo, s46
	s_and_saveexec_b32 s46, s47
	s_xor_b32 s46, exec_lo, s46
	s_cbranch_execz .LBB4_975
; %bb.974:                              ;   in Loop: Header=BB4_77 Depth=1
	ds_write_b32 v0, v70
	s_trap 2
.LBB4_975:                              ;   in Loop: Header=BB4_77 Depth=1
	s_or_b32 exec_lo, exec_lo, s45
	;;#ASMSTART
	s_wakeup
	;;#ASMEND
.LBB4_976:                              ;   in Loop: Header=BB4_77 Depth=1
	s_or_b32 exec_lo, exec_lo, s23
.LBB4_977:                              ;   in Loop: Header=BB4_77 Depth=1
	s_andn2_saveexec_b32 s19, s19
	s_cbranch_execz .LBB4_979
; %bb.978:                              ;   in Loop: Header=BB4_77 Depth=1
	s_waitcnt vmcnt(0) lgkmcnt(0)
	s_waitcnt_vscnt null, 0x0
	buffer_gl1_inv
	buffer_gl0_inv
	s_barrier
.LBB4_979:                              ;   in Loop: Header=BB4_77 Depth=1
	s_or_b32 exec_lo, exec_lo, s19
	s_or_b32 exec_lo, exec_lo, s17
                                        ; implicit-def: $vgpr3
	s_and_saveexec_b32 s17, s41
	s_xor_b32 s17, exec_lo, s17
	s_cbranch_execnz .LBB4_913
.LBB4_980:                              ;   in Loop: Header=BB4_77 Depth=1
	s_andn2_saveexec_b32 s19, s17
	s_cbranch_execz .LBB4_984
.LBB4_981:                              ;   in Loop: Header=BB4_77 Depth=1
	s_trap 2
	ds_read_b32 v3, v0
	v_cmp_lt_i32_e32 vcc_lo, 0, v2
	s_waitcnt lgkmcnt(0)
	v_readfirstlane_b32 s17, v3
	v_and_b32_e32 v3, 16, v55
	s_cmp_eq_u32 s17, 0
	v_cmp_ne_u32_e64 s17, 0, v3
	s_cselect_b32 s23, -1, 0
	v_and_b32_e32 v3, 16, v55
	s_and_b32 s23, vcc_lo, s23
	s_and_b32 s23, s17, s23
	s_and_saveexec_b32 s17, s23
	s_cbranch_execz .LBB4_983
; %bb.982:                              ;   in Loop: Header=BB4_77 Depth=1
	v_mov_b32_e32 v3, 1
	s_waitcnt vmcnt(0)
	s_waitcnt_vscnt null, 0x0
	buffer_gl1_inv
	buffer_gl0_inv
.LBB4_983:                              ;   in Loop: Header=BB4_77 Depth=1
	s_or_b32 exec_lo, exec_lo, s17
.LBB4_984:                              ;   in Loop: Header=BB4_77 Depth=1
	s_or_b32 exec_lo, exec_lo, s19
	s_mov_b32 s17, s21
	s_mov_b32 s23, s20
	s_mov_b32 s19, exec_lo
	v_cmpx_ne_u32_e32 0, v3
; %bb.985:                              ;   in Loop: Header=BB4_77 Depth=1
	s_andn2_b32 s17, s20, exec_lo
	s_and_b32 s23, s10, exec_lo
	s_andn2_b32 s45, s21, exec_lo
	s_and_b32 s46, s11, exec_lo
	s_or_b32 s23, s17, s23
	s_or_b32 s17, s45, s46
; %bb.986:                              ;   in Loop: Header=BB4_77 Depth=1
	s_or_b32 exec_lo, exec_lo, s19
	s_andn2_b32 s19, s20, exec_lo
	s_and_b32 s23, s23, exec_lo
	s_andn2_b32 s45, s21, exec_lo
	s_and_b32 s17, s17, exec_lo
	s_or_b32 s23, s19, s23
	s_or_b32 s19, s45, s17
.LBB4_987:                              ;   in Loop: Header=BB4_77 Depth=1
	s_or_b32 exec_lo, exec_lo, s18
	s_andn2_b32 s17, s20, exec_lo
	s_and_b32 s18, s23, exec_lo
	s_andn2_b32 s21, s21, exec_lo
	s_and_b32 s19, s19, exec_lo
	s_or_b32 s20, s17, s18
	s_or_b32 s21, s21, s19
.LBB4_988:                              ;   in Loop: Header=BB4_77 Depth=1
	s_or_b32 exec_lo, exec_lo, s22
	s_and_saveexec_b32 s17, s21
	s_cbranch_execz .LBB4_990
; %bb.989:                              ;   in Loop: Header=BB4_77 Depth=1
	s_or_b32 s20, s20, exec_lo
	s_waitcnt vmcnt(0) lgkmcnt(0)
	s_waitcnt_vscnt null, 0x0
	flat_store_dword v[26:27], v70
.LBB4_990:                              ;   in Loop: Header=BB4_77 Depth=1
	s_or_b32 exec_lo, exec_lo, s17
	s_andn2_b32 s17, s43, exec_lo
	s_and_b32 s18, s20, exec_lo
	s_or_b32 s43, s17, s18
	s_or_b32 exec_lo, exec_lo, s44
	s_and_saveexec_b32 s17, s43
	s_cbranch_execz .LBB4_76
	s_branch .LBB4_1002
.LBB4_991:                              ;   in Loop: Header=BB4_77 Depth=1
	s_inst_prefetch 0x2
	s_or_b32 exec_lo, exec_lo, s46
	s_and_saveexec_b32 s46, s47
	s_xor_b32 s46, exec_lo, s46
	s_cbranch_execz .LBB4_993
; %bb.992:                              ;   in Loop: Header=BB4_77 Depth=1
	ds_write_b32 v0, v70
	s_trap 2
.LBB4_993:                              ;   in Loop: Header=BB4_77 Depth=1
	s_or_b32 exec_lo, exec_lo, s45
	;;#ASMSTART
	s_wakeup
	;;#ASMEND
.LBB4_994:                              ;   in Loop: Header=BB4_77 Depth=1
	s_or_b32 exec_lo, exec_lo, s43
.LBB4_995:                              ;   in Loop: Header=BB4_77 Depth=1
	s_andn2_saveexec_b32 s23, s23
	s_cbranch_execz .LBB4_997
; %bb.996:                              ;   in Loop: Header=BB4_77 Depth=1
	;;#ASMSTART
	s_waitcnt lgkmcnt(0) vmcnt(0)
	;;#ASMEND
	s_barrier
.LBB4_997:                              ;   in Loop: Header=BB4_77 Depth=1
	s_or_b32 exec_lo, exec_lo, s23
.LBB4_998:                              ;   in Loop: Header=BB4_77 Depth=1
	s_or_b32 exec_lo, exec_lo, s19
	v_and_b32_e32 v2, 32, v55
	s_andn2_b32 s19, s21, exec_lo
	v_cmp_ne_u32_e32 vcc_lo, 0, v2
	s_and_b32 s23, vcc_lo, exec_lo
	s_or_b32 s19, s19, s23
.LBB4_999:                              ;   in Loop: Header=BB4_77 Depth=1
	s_or_b32 exec_lo, exec_lo, s20
	s_andn2_b32 s20, s21, exec_lo
	s_and_b32 s19, s19, exec_lo
	s_or_b32 s21, s20, s19
.LBB4_1000:                             ;   in Loop: Header=BB4_77 Depth=1
	s_or_b32 exec_lo, exec_lo, s22
	s_and_b32 s43, s21, exec_lo
                                        ; implicit-def: $vgpr38
                                        ; implicit-def: $vgpr103
                                        ; implicit-def: $vgpr2
                                        ; implicit-def: $vgpr3
	s_andn2_saveexec_b32 s44, s44
	s_cbranch_execnz .LBB4_86
.LBB4_1001:                             ;   in Loop: Header=BB4_77 Depth=1
	s_or_b32 exec_lo, exec_lo, s44
	s_and_saveexec_b32 s17, s43
	s_cbranch_execz .LBB4_76
.LBB4_1002:                             ;   in Loop: Header=BB4_77 Depth=1
	v_add_co_u32 v8, vcc_lo, v8, 1
	v_add_co_ci_u32_e64 v9, null, 0, v9, vcc_lo
	s_waitcnt vmcnt(0) lgkmcnt(0)
	s_waitcnt_vscnt null, 0x0
	flat_store_dwordx2 v[20:21], v[8:9]
	s_branch .LBB4_76
.LBB4_1003:
	s_or_b32 exec_lo, exec_lo, s28
.LBB4_1004:
	s_or_b32 exec_lo, exec_lo, s26
	v_and_b32_e32 v0, 0x800, v55
	s_mov_b32 s5, exec_lo
	v_cmpx_eq_u32_e32 0, v0
	s_cbranch_execz .LBB4_1037
; %bb.1005:
	v_and_b32_e32 v0, 48, v55
	s_mov_b32 s4, exec_lo
	v_cmpx_ne_u32_e32 0, v0
	s_cbranch_execz .LBB4_1007
; %bb.1006:
	s_waitcnt vmcnt(0) lgkmcnt(0)
	flat_store_dwordx2 v[18:19], v[8:9] offset:104
.LBB4_1007:
	s_or_b32 exec_lo, exec_lo, s4
	v_and_b32_e32 v0, 0x88, v55
	s_mov_b32 s6, exec_lo
	v_cmpx_eq_u32_e32 0x88, v0
	s_cbranch_execz .LBB4_1017
; %bb.1008:
	s_waitcnt vmcnt(0) lgkmcnt(0)
	v_add_nc_u32_e32 v0, -1, v8
	v_and_b32_e32 v4, 64, v55
	s_mov_b32 s7, 0
	v_and_b32_e32 v0, 7, v0
	v_cmp_eq_u32_e64 s4, 0, v4
	v_mad_u64_u32 v[0:1], null, v0, 24, v[6:7]
	flat_load_dwordx2 v[2:3], v[0:1] offset:8 glc dlc
	s_waitcnt vmcnt(0) lgkmcnt(0)
	v_cmp_ne_u64_e32 vcc_lo, -1, v[2:3]
	s_and_b32 s4, vcc_lo, s4
	s_and_b32 exec_lo, exec_lo, s4
	s_cbranch_execz .LBB4_1017
; %bb.1009:
	s_mov_b32 s11, 0
                                        ; implicit-def: $sgpr4
                                        ; implicit-def: $sgpr10
	s_inst_prefetch 0x1
	s_branch .LBB4_1012
	.p2align	6
.LBB4_1010:                             ;   in Loop: Header=BB4_1012 Depth=1
	flat_load_dwordx2 v[3:4], v[0:1] offset:8 glc dlc
	s_waitcnt vmcnt(0)
	s_andn2_b32 s10, s10, exec_lo
	s_waitcnt lgkmcnt(0)
	v_cmp_eq_u64_e32 vcc_lo, -1, v[3:4]
	s_orn2_b32 s13, vcc_lo, exec_lo
.LBB4_1011:                             ;   in Loop: Header=BB4_1012 Depth=1
	s_or_b32 exec_lo, exec_lo, s14
	s_and_b32 s12, exec_lo, s13
	s_or_b32 s7, s12, s7
	s_andn2_b32 s4, s4, exec_lo
	s_and_b32 s12, s10, exec_lo
	s_or_b32 s4, s4, s12
	s_andn2_b32 exec_lo, exec_lo, s7
	s_cbranch_execz .LBB4_1015
.LBB4_1012:                             ; =>This Inner Loop Header: Depth=1
	s_cmpk_lt_i32 s11, 0x270f
	s_cselect_b32 s12, -1, 0
	s_and_b32 vcc_lo, exec_lo, s12
	s_cbranch_vccnz .LBB4_1014
; %bb.1013:                             ;   in Loop: Header=BB4_1012 Depth=1
	s_trap 2
	ds_read_b64 v[2:3], v0
	s_andn2_b32 s12, s12, exec_lo
	s_mov_b32 s11, 0
	s_waitcnt lgkmcnt(0)
	s_waitcnt_vscnt null, 0x0
	flat_load_dword v2, v[2:3] glc dlc
	s_waitcnt vmcnt(0) lgkmcnt(0)
	buffer_gl1_inv
	buffer_gl0_inv
	v_cmp_eq_u32_e32 vcc_lo, 0, v2
	s_and_b32 s13, vcc_lo, exec_lo
	s_or_b32 s12, s12, s13
	s_mov_b32 s13, -1
	s_or_b32 s10, s10, exec_lo
	s_and_saveexec_b32 s14, s12
	s_cbranch_execz .LBB4_1011
	s_branch .LBB4_1010
	.p2align	6
.LBB4_1014:                             ;   in Loop: Header=BB4_1012 Depth=1
	s_add_i32 s11, s11, 1
                                        ; implicit-def: $vgpr2
	s_mov_b32 s13, -1
	s_or_b32 s10, s10, exec_lo
	s_and_saveexec_b32 s14, s12
	s_cbranch_execz .LBB4_1011
	s_branch .LBB4_1010
.LBB4_1015:
	s_inst_prefetch 0x2
	s_or_b32 exec_lo, exec_lo, s7
	s_and_saveexec_b32 s7, s4
	s_xor_b32 s7, exec_lo, s7
	s_cbranch_execz .LBB4_1017
; %bb.1016:
	s_waitcnt_vscnt null, 0x0
	ds_write_b32 v0, v2
	s_trap 2
.LBB4_1017:
	s_or_b32 exec_lo, exec_lo, s6
	v_and_b32_e32 v0, 0x2000, v55
	s_mov_b32 s4, exec_lo
	v_cmpx_ne_u32_e32 0, v0
	s_cbranch_execz .LBB4_1019
; %bb.1018:
	ds_read_b64 v[0:1], v0 offset:872
	s_waitcnt lgkmcnt(0)
	flat_store_dwordx2 v[16:17], v[0:1] offset:16
.LBB4_1019:
	s_or_b32 exec_lo, exec_lo, s4
	v_cmp_ne_u32_e32 vcc_lo, 32, v30
	s_and_b32 exec_lo, exec_lo, vcc_lo
	s_cbranch_execz .LBB4_1037
; %bb.1020:
	s_waitcnt vmcnt(0)
	v_cmp_ne_u32_sdwa s4, v30, v54 src0_sel:DWORD src1_sel:WORD_0
	s_and_saveexec_b32 s6, s4
	s_xor_b32 s4, exec_lo, s6
	s_cbranch_execz .LBB4_1035
; %bb.1021:
	v_and_b32_e32 v0, 31, v31
	s_mov_b32 s6, exec_lo
	v_cmpx_eq_u32_e32 0, v0
	s_cbranch_execz .LBB4_1034
; %bb.1022:
	s_mov_b32 s10, exec_lo
	s_mov_b32 s7, exec_lo
	v_mbcnt_lo_u32_b32 v0, s10, 0
	s_waitcnt lgkmcnt(0)
	s_waitcnt_vscnt null, 0x0
	buffer_gl1_inv
	buffer_gl0_inv
	v_cmpx_eq_u32_e32 0, v0
	s_cbranch_execz .LBB4_1024
; %bb.1023:
	s_bcnt1_i32_b32 s10, s10
	v_mov_b32_e32 v1, 0
	v_mov_b32_e32 v0, s10
	ds_add_u64 v0, v[0:1]
	s_trap 2
.LBB4_1024:
	s_or_b32 exec_lo, exec_lo, s7
	s_trap 2
	ds_read_b64 v[2:3], v0
	s_waitcnt lgkmcnt(0)
	buffer_gl0_inv
	v_lshrrev_b32_e32 v0, 5, v30
	s_mov_b32 s7, exec_lo
	v_add_co_u32 v0, vcc_lo, v24, v0
	v_add_co_ci_u32_e64 v1, null, 0, v25, vcc_lo
	v_cmpx_lt_u64_e64 v[2:3], v[0:1]
	s_cbranch_execz .LBB4_1033
; %bb.1025:
	s_mov_b32 s10, 0
	s_mov_b32 s13, 0
                                        ; implicit-def: $sgpr11
                                        ; implicit-def: $sgpr12
	s_inst_prefetch 0x1
	s_branch .LBB4_1027
	.p2align	6
.LBB4_1026:                             ;   in Loop: Header=BB4_1027 Depth=1
	s_or_b32 exec_lo, exec_lo, s15
	s_and_b32 s14, exec_lo, s16
	s_or_b32 s10, s14, s10
	s_andn2_b32 s11, s11, exec_lo
	s_and_b32 s14, s12, exec_lo
	s_or_b32 s11, s11, s14
	s_andn2_b32 exec_lo, exec_lo, s10
	s_cbranch_execz .LBB4_1031
.LBB4_1027:                             ; =>This Inner Loop Header: Depth=1
	s_add_i32 s13, s13, 1
	s_cmpk_lg_i32 s13, 0x2710
	s_cselect_b32 s14, -1, 0
	s_and_b32 vcc_lo, exec_lo, s14
	s_cbranch_vccz .LBB4_1029
; %bb.1028:                             ;   in Loop: Header=BB4_1027 Depth=1
	s_mov_b32 s16, -1
	s_or_b32 s12, s12, exec_lo
	s_and_saveexec_b32 s15, s14
	s_cbranch_execz .LBB4_1026
	s_branch .LBB4_1030
.LBB4_1029:                             ;   in Loop: Header=BB4_1027 Depth=1
	s_trap 2
	ds_read_b64 v[2:3], v0
	s_andn2_b32 s14, s14, exec_lo
	s_mov_b32 s13, 0
	s_waitcnt lgkmcnt(0)
	flat_load_dword v2, v[2:3] glc dlc
	s_waitcnt vmcnt(0) lgkmcnt(0)
	buffer_gl1_inv
	buffer_gl0_inv
	v_cmp_eq_u32_e32 vcc_lo, 0, v2
	s_and_b32 s15, vcc_lo, exec_lo
	s_or_b32 s14, s14, s15
	s_mov_b32 s16, -1
	s_or_b32 s12, s12, exec_lo
	s_and_saveexec_b32 s15, s14
	s_cbranch_execz .LBB4_1026
.LBB4_1030:                             ;   in Loop: Header=BB4_1027 Depth=1
	s_sleep 1
	s_trap 2
	ds_read_b64 v[2:3], v0
	s_waitcnt lgkmcnt(0)
	buffer_gl0_inv
	s_andn2_b32 s12, s12, exec_lo
	v_cmp_ge_u64_e32 vcc_lo, v[2:3], v[0:1]
	s_orn2_b32 s16, vcc_lo, exec_lo
	s_branch .LBB4_1026
.LBB4_1031:
	s_inst_prefetch 0x2
	s_or_b32 exec_lo, exec_lo, s10
	s_and_saveexec_b32 s10, s11
	s_xor_b32 s10, exec_lo, s10
	s_cbranch_execz .LBB4_1033
; %bb.1032:
	v_mov_b32_e32 v0, 1
	ds_write_b32 v0, v0
	s_trap 2
.LBB4_1033:
	s_or_b32 exec_lo, exec_lo, s7
	;;#ASMSTART
	s_wakeup
	;;#ASMEND
.LBB4_1034:
	s_or_b32 exec_lo, exec_lo, s6
.LBB4_1035:
	s_andn2_saveexec_b32 s4, s4
	s_cbranch_execz .LBB4_1037
; %bb.1036:
	s_waitcnt lgkmcnt(0)
	s_waitcnt_vscnt null, 0x0
	buffer_gl1_inv
	buffer_gl0_inv
	s_barrier
.LBB4_1037:
	s_or_b32 exec_lo, exec_lo, s5
.LBB4_1038:
	s_andn2_saveexec_b32 s26, s24
	s_cbranch_execz .LBB4_1040
; %bb.1039:
	s_getpc_b64 s[4:5]
	s_add_u32 s4, s4, __PRETTY_FUNCTION__._ZN10PrimitivesIa7FuncSumIaE12FanSymmetricILi1EELi0E11ProtoSimpleILi1ELi1ELi0ELi1ELi0ELi0EELi0ELb0ELi0ELi0ELi0EEC2EiiPKiS8_PKvPvmhhhP15ncclDevWorkCollP14ncclDevWorkP2pii@rel32@lo+4
	s_addc_u32 s5, s5, __PRETTY_FUNCTION__._ZN10PrimitivesIa7FuncSumIaE12FanSymmetricILi1EELi0E11ProtoSimpleILi1ELi1ELi0ELi1ELi0ELi0EELi0ELb0ELi0ELi0ELi0EEC2EiiPKiS8_PKvPvmhhhP15ncclDevWorkCollP14ncclDevWorkP2pii@rel32@hi+12
	v_mov_b32_e32 v0, s4
	v_mov_b32_e32 v1, s5
	s_getpc_b64 s[6:7]
	s_add_u32 s6, s6, __assert_fail@rel32@lo+4
	s_addc_u32 s7, s7, __assert_fail@rel32@hi+12
	s_swappc_b64 s[30:31], s[6:7]
	; divergent unreachable
.LBB4_1040:
	s_or_b32 exec_lo, exec_lo, s26
.LBB4_1041:
	s_or_b32 exec_lo, exec_lo, s25
	s_clause 0xa
	buffer_load_dword v58, off, s[0:3], s33
	buffer_load_dword v57, off, s[0:3], s33 offset:4
	buffer_load_dword v56, off, s[0:3], s33 offset:8
	;; [unrolled: 1-line block ×10, first 2 shown]
	v_readlane_b32 s30, v59, 0
	v_readlane_b32 s31, v59, 1
	s_mov_b32 s32, s33
	s_or_saveexec_b32 s4, -1
	buffer_load_dword v59, off, s[0:3], s33 offset:44 ; 4-byte Folded Reload
	s_mov_b32 exec_lo, s4
	s_mov_b32 s33, s72
	s_waitcnt vmcnt(0) lgkmcnt(0)
	s_setpc_b64 s[30:31]
.Lfunc_end4:
	.size	_ZN12_GLOBAL__N_17runRingIa7FuncSumIaE11ProtoSimpleILi1ELi1ELi0ELi1ELi0ELi0EELi0ELi1ELi0EEEviiP15ncclDevWorkColl, .Lfunc_end4-_ZN12_GLOBAL__N_17runRingIa7FuncSumIaE11ProtoSimpleILi1ELi1ELi0ELi1ELi0ELi0EELi0ELi1ELi0EEEviiP15ncclDevWorkColl
                                        ; -- End function
	.set .L_ZN12_GLOBAL__N_17runRingIa7FuncSumIaE11ProtoSimpleILi1ELi1ELi0ELi1ELi0ELi0EELi0ELi1ELi0EEEviiP15ncclDevWorkColl.num_vgpr, max(120, .L__assert_fail.num_vgpr)
	.set .L_ZN12_GLOBAL__N_17runRingIa7FuncSumIaE11ProtoSimpleILi1ELi1ELi0ELi1ELi0ELi0EELi0ELi1ELi0EEEviiP15ncclDevWorkColl.num_agpr, max(0, .L__assert_fail.num_agpr)
	.set .L_ZN12_GLOBAL__N_17runRingIa7FuncSumIaE11ProtoSimpleILi1ELi1ELi0ELi1ELi0ELi0EELi0ELi1ELi0EEEviiP15ncclDevWorkColl.numbered_sgpr, max(73, .L__assert_fail.numbered_sgpr)
	.set .L_ZN12_GLOBAL__N_17runRingIa7FuncSumIaE11ProtoSimpleILi1ELi1ELi0ELi1ELi0ELi0EELi0ELi1ELi0EEEviiP15ncclDevWorkColl.num_named_barrier, max(0, .L__assert_fail.num_named_barrier)
	.set .L_ZN12_GLOBAL__N_17runRingIa7FuncSumIaE11ProtoSimpleILi1ELi1ELi0ELi1ELi0ELi0EELi0ELi1ELi0EEEviiP15ncclDevWorkColl.private_seg_size, 64+max(.L__assert_fail.private_seg_size)
	.set .L_ZN12_GLOBAL__N_17runRingIa7FuncSumIaE11ProtoSimpleILi1ELi1ELi0ELi1ELi0ELi0EELi0ELi1ELi0EEEviiP15ncclDevWorkColl.uses_vcc, or(1, .L__assert_fail.uses_vcc)
	.set .L_ZN12_GLOBAL__N_17runRingIa7FuncSumIaE11ProtoSimpleILi1ELi1ELi0ELi1ELi0ELi0EELi0ELi1ELi0EEEviiP15ncclDevWorkColl.uses_flat_scratch, or(1, .L__assert_fail.uses_flat_scratch)
	.set .L_ZN12_GLOBAL__N_17runRingIa7FuncSumIaE11ProtoSimpleILi1ELi1ELi0ELi1ELi0ELi0EELi0ELi1ELi0EEEviiP15ncclDevWorkColl.has_dyn_sized_stack, or(0, .L__assert_fail.has_dyn_sized_stack)
	.set .L_ZN12_GLOBAL__N_17runRingIa7FuncSumIaE11ProtoSimpleILi1ELi1ELi0ELi1ELi0ELi0EELi0ELi1ELi0EEEviiP15ncclDevWorkColl.has_recursion, or(1, .L__assert_fail.has_recursion)
	.set .L_ZN12_GLOBAL__N_17runRingIa7FuncSumIaE11ProtoSimpleILi1ELi1ELi0ELi1ELi0ELi0EELi0ELi1ELi0EEEviiP15ncclDevWorkColl.has_indirect_call, or(0, .L__assert_fail.has_indirect_call)
	.section	.AMDGPU.csdata,"",@progbits
; Function info:
; codeLenInByte = 36220
; TotalNumSgprs: 75
; NumVgprs: 120
; ScratchSize: 128
; MemoryBound: 1
	.text
	.p2align	2                               ; -- Begin function _Z46ncclDevFunc_Broadcast_RING_SIMPLE_Sum_i8_0_0_1v
	.type	_Z46ncclDevFunc_Broadcast_RING_SIMPLE_Sum_i8_0_0_1v,@function
_Z46ncclDevFunc_Broadcast_RING_SIMPLE_Sum_i8_0_0_1v: ; @_Z46ncclDevFunc_Broadcast_RING_SIMPLE_Sum_i8_0_0_1v
; %bb.0:
	s_waitcnt vmcnt(0) expcnt(0) lgkmcnt(0)
	s_mov_b32 s78, s33
	s_mov_b32 s33, s32
	s_or_saveexec_b32 s4, -1
	buffer_store_dword v43, off, s[0:3], s33 offset:16 ; 4-byte Folded Spill
	s_mov_b32 exec_lo, s4
	s_addk_i32 s32, 0x400
	buffer_store_dword v40, off, s[0:3], s33 offset:12 ; 4-byte Folded Spill
	buffer_store_dword v41, off, s[0:3], s33 offset:8 ; 4-byte Folded Spill
	buffer_store_dword v42, off, s[0:3], s33 offset:4 ; 4-byte Folded Spill
	buffer_store_dword v59, off, s[0:3], s33 ; 4-byte Folded Spill
	v_writelane_b32 v43, s30, 0
	v_writelane_b32 v43, s31, 1
	s_trap 2
	ds_read_b32 v0, v0
	v_mov_b32_e32 v40, v31
	s_waitcnt lgkmcnt(0)
	v_cmp_gt_i32_e32 vcc_lo, 1, v0
	s_cbranch_vccnz .LBB5_8
; %bb.1:
	v_and_b32_e32 v41, 0x3ff, v40
	v_mov_b32_e32 v42, 5
	s_mov_b32 s73, s12
	s_mov_b64 s[74:75], s[8:9]
	s_mov_b32 s76, 0
	s_inst_prefetch 0x1
	s_branch .LBB5_3
	.p2align	6
.LBB5_2:                                ;   in Loop: Header=BB5_3 Depth=1
	s_or_b32 exec_lo, exec_lo, s77
	s_trap 2
	ds_read_b32 v0, v0
	s_add_i32 s76, s76, 1
	s_waitcnt lgkmcnt(0)
	v_cmp_lt_i32_e32 vcc_lo, s76, v0
	s_cbranch_vccz .LBB5_8
.LBB5_3:                                ; =>This Inner Loop Header: Depth=1
	s_trap 2
	ds_read_b32 v0, v0
	s_cmp_eq_u32 s76, 0
	s_cbranch_scc1 .LBB5_6
; %bb.4:                                ;   in Loop: Header=BB5_3 Depth=1
	s_trap 2
	s_waitcnt lgkmcnt(0)
	ds_read_b32 v1, v0
	s_waitcnt lgkmcnt(0)
	v_xor_b32_e32 v1, v1, v0
	v_and_b32_e32 v1, 0xff0000, v1
	v_cmp_eq_u32_e32 vcc_lo, 0, v1
	s_cbranch_vccnz .LBB5_6
; %bb.5:                                ;   in Loop: Header=BB5_3 Depth=1
	s_waitcnt_vscnt null, 0x0
	s_barrier
	buffer_gl0_inv
	ds_read_b32 v0, v0
.LBB5_6:                                ;   in Loop: Header=BB5_3 Depth=1
	s_waitcnt lgkmcnt(0)
	v_lshlrev_b32_sdwa v1, v42, v0 dst_sel:DWORD dst_unused:UNUSED_PAD src0_sel:DWORD src1_sel:BYTE_2
	s_mov_b32 s77, exec_lo
	v_cmpx_lt_u32_e64 v41, v1
	s_cbranch_execz .LBB5_2
; %bb.7:                                ;   in Loop: Header=BB5_3 Depth=1
	s_mov_b64 s[4:5], src_shared_base
	v_mov_b32_e32 v31, v40
	v_mov_b32_e32 v0, v41
	;; [unrolled: 1-line block ×3, first 2 shown]
	s_getpc_b64 s[6:7]
	s_add_u32 s6, s6, _ZN12_GLOBAL__N_17runRingIa7FuncSumIaE11ProtoSimpleILi1ELi1ELi0ELi1ELi0ELi0EELi0ELi1ELi0EEEviiP15ncclDevWorkColl@rel32@lo+4
	s_addc_u32 s7, s7, _ZN12_GLOBAL__N_17runRingIa7FuncSumIaE11ProtoSimpleILi1ELi1ELi0ELi1ELi0ELi0EELi0ELi1ELi0EEEviiP15ncclDevWorkColl@rel32@hi+12
	s_mov_b64 s[8:9], s[74:75]
	s_mov_b32 s12, s73
	s_swappc_b64 s[30:31], s[6:7]
	s_branch .LBB5_2
.LBB5_8:
	s_inst_prefetch 0x2
	s_clause 0x3
	buffer_load_dword v59, off, s[0:3], s33
	buffer_load_dword v42, off, s[0:3], s33 offset:4
	buffer_load_dword v41, off, s[0:3], s33 offset:8
	buffer_load_dword v40, off, s[0:3], s33 offset:12
	v_readlane_b32 s30, v43, 0
	v_readlane_b32 s31, v43, 1
	s_mov_b32 s32, s33
	s_or_saveexec_b32 s4, -1
	buffer_load_dword v43, off, s[0:3], s33 offset:16 ; 4-byte Folded Reload
	s_mov_b32 exec_lo, s4
	s_mov_b32 s33, s78
	s_waitcnt vmcnt(0)
	s_setpc_b64 s[30:31]
.Lfunc_end5:
	.size	_Z46ncclDevFunc_Broadcast_RING_SIMPLE_Sum_i8_0_0_1v, .Lfunc_end5-_Z46ncclDevFunc_Broadcast_RING_SIMPLE_Sum_i8_0_0_1v
                                        ; -- End function
	.set .L_Z46ncclDevFunc_Broadcast_RING_SIMPLE_Sum_i8_0_0_1v.num_vgpr, max(60, .L_ZN12_GLOBAL__N_17runRingIa7FuncSumIaE11ProtoSimpleILi1ELi1ELi0ELi1ELi0ELi0EELi0ELi1ELi0EEEviiP15ncclDevWorkColl.num_vgpr)
	.set .L_Z46ncclDevFunc_Broadcast_RING_SIMPLE_Sum_i8_0_0_1v.num_agpr, max(0, .L_ZN12_GLOBAL__N_17runRingIa7FuncSumIaE11ProtoSimpleILi1ELi1ELi0ELi1ELi0ELi0EELi0ELi1ELi0EEEviiP15ncclDevWorkColl.num_agpr)
	.set .L_Z46ncclDevFunc_Broadcast_RING_SIMPLE_Sum_i8_0_0_1v.numbered_sgpr, max(79, .L_ZN12_GLOBAL__N_17runRingIa7FuncSumIaE11ProtoSimpleILi1ELi1ELi0ELi1ELi0ELi0EELi0ELi1ELi0EEEviiP15ncclDevWorkColl.numbered_sgpr)
	.set .L_Z46ncclDevFunc_Broadcast_RING_SIMPLE_Sum_i8_0_0_1v.num_named_barrier, max(0, .L_ZN12_GLOBAL__N_17runRingIa7FuncSumIaE11ProtoSimpleILi1ELi1ELi0ELi1ELi0ELi0EELi0ELi1ELi0EEEviiP15ncclDevWorkColl.num_named_barrier)
	.set .L_Z46ncclDevFunc_Broadcast_RING_SIMPLE_Sum_i8_0_0_1v.private_seg_size, 32+max(.L_ZN12_GLOBAL__N_17runRingIa7FuncSumIaE11ProtoSimpleILi1ELi1ELi0ELi1ELi0ELi0EELi0ELi1ELi0EEEviiP15ncclDevWorkColl.private_seg_size)
	.set .L_Z46ncclDevFunc_Broadcast_RING_SIMPLE_Sum_i8_0_0_1v.uses_vcc, or(1, .L_ZN12_GLOBAL__N_17runRingIa7FuncSumIaE11ProtoSimpleILi1ELi1ELi0ELi1ELi0ELi0EELi0ELi1ELi0EEEviiP15ncclDevWorkColl.uses_vcc)
	.set .L_Z46ncclDevFunc_Broadcast_RING_SIMPLE_Sum_i8_0_0_1v.uses_flat_scratch, or(0, .L_ZN12_GLOBAL__N_17runRingIa7FuncSumIaE11ProtoSimpleILi1ELi1ELi0ELi1ELi0ELi0EELi0ELi1ELi0EEEviiP15ncclDevWorkColl.uses_flat_scratch)
	.set .L_Z46ncclDevFunc_Broadcast_RING_SIMPLE_Sum_i8_0_0_1v.has_dyn_sized_stack, or(0, .L_ZN12_GLOBAL__N_17runRingIa7FuncSumIaE11ProtoSimpleILi1ELi1ELi0ELi1ELi0ELi0EELi0ELi1ELi0EEEviiP15ncclDevWorkColl.has_dyn_sized_stack)
	.set .L_Z46ncclDevFunc_Broadcast_RING_SIMPLE_Sum_i8_0_0_1v.has_recursion, or(1, .L_ZN12_GLOBAL__N_17runRingIa7FuncSumIaE11ProtoSimpleILi1ELi1ELi0ELi1ELi0ELi0EELi0ELi1ELi0EEEviiP15ncclDevWorkColl.has_recursion)
	.set .L_Z46ncclDevFunc_Broadcast_RING_SIMPLE_Sum_i8_0_0_1v.has_indirect_call, or(0, .L_ZN12_GLOBAL__N_17runRingIa7FuncSumIaE11ProtoSimpleILi1ELi1ELi0ELi1ELi0ELi0EELi0ELi1ELi0EEEviiP15ncclDevWorkColl.has_indirect_call)
	.section	.AMDGPU.csdata,"",@progbits
; Function info:
; codeLenInByte = 476
; TotalNumSgprs: 81
; NumVgprs: 120
; ScratchSize: 160
; MemoryBound: 0
	.text
	.p2align	2                               ; -- Begin function _ZN12_GLOBAL__N_17runRingIa7FuncSumIaE7ProtoLLLi0ELi2ELi0EEEviiP15ncclDevWorkColl
	.type	_ZN12_GLOBAL__N_17runRingIa7FuncSumIaE7ProtoLLLi0ELi2ELi0EEEviiP15ncclDevWorkColl,@function
_ZN12_GLOBAL__N_17runRingIa7FuncSumIaE7ProtoLLLi0ELi2ELi0EEEviiP15ncclDevWorkColl: ; @_ZN12_GLOBAL__N_17runRingIa7FuncSumIaE7ProtoLLLi0ELi2ELi0EEEviiP15ncclDevWorkColl
; %bb.0:
	s_waitcnt vmcnt(0) expcnt(0) lgkmcnt(0)
	s_trap 2
	ds_read_b64 v[4:5], v0
	s_clause 0x1
	flat_load_dwordx2 v[16:17], v[2:3]
	flat_load_ushort v9, v[2:3] offset:8
	ds_read_b32 v6, v0
                                        ; implicit-def: $vgpr38_vgpr39
                                        ; implicit-def: $vgpr14_vgpr15
	s_waitcnt lgkmcnt(3)
	flat_load_dwordx2 v[48:49], v[4:5]
                                        ; implicit-def: $vgpr4_vgpr5
	s_waitcnt vmcnt(2) lgkmcnt(3)
	v_mov_b32_e32 v8, v17
	s_waitcnt lgkmcnt(1)
	v_cmp_ne_u32_sdwa s4, v6, v16 src0_sel:DWORD src1_sel:BYTE_0
	s_and_saveexec_b32 s5, s4
	s_xor_b32 s4, exec_lo, s5
	s_cbranch_execz .LBB6_6
; %bb.1:
	v_not_b32_sdwa v10, v16 dst_sel:DWORD dst_unused:UNUSED_PAD src0_sel:BYTE_0
	v_cmp_ne_u32_sdwa s5, v6, v16 src0_sel:DWORD src1_sel:BYTE_1
                                        ; implicit-def: $vgpr38_vgpr39
                                        ; implicit-def: $vgpr4_vgpr5
                                        ; implicit-def: $vgpr14_vgpr15
	s_and_saveexec_b32 s6, s5
	s_xor_b32 s5, exec_lo, s6
	s_cbranch_execz .LBB6_3
; %bb.2:
	s_clause 0x1
	flat_load_dwordx4 v[17:20], v[2:3] offset:72
	flat_load_dwordx2 v[4:5], v[2:3] offset:96
	v_add_nc_u32_e32 v6, v6, v10
                                        ; implicit-def: $vgpr10
	v_ashrrev_i32_e32 v7, 31, v6
	s_waitcnt vmcnt(1) lgkmcnt(1)
	v_mul_lo_u32 v7, v19, v7
	v_mad_u64_u32 v[14:15], null, v19, v6, v[17:18]
	v_mul_lo_u32 v6, v20, v6
	s_waitcnt vmcnt(0) lgkmcnt(0)
	v_lshrrev_b64 v[38:39], 21, v[4:5]
	v_mov_b32_e32 v4, v19
	v_mov_b32_e32 v5, v20
	v_add3_u32 v15, v6, v15, v7
.LBB6_3:
	s_andn2_saveexec_b32 s5, s5
	s_cbranch_execz .LBB6_5
; %bb.4:
	s_clause 0x1
	flat_load_dwordx4 v[17:20], v[2:3] offset:72
	flat_load_dwordx4 v[4:7], v[2:3] offset:88
	s_waitcnt vmcnt(0) lgkmcnt(0)
	v_add_nc_u32_sdwa v6, v16, v10 dst_sel:DWORD dst_unused:UNUSED_PAD src0_sel:BYTE_1 src1_sel:DWORD
	v_ashrrev_i32_e32 v10, 31, v6
	v_mul_lo_u32 v10, v19, v10
	v_mad_u64_u32 v[14:15], null, v19, v6, v[17:18]
	v_mul_lo_u32 v6, v20, v6
	v_lshrrev_b32_e32 v38, 10, v7
	v_add3_u32 v15, v6, v15, v10
.LBB6_5:
	s_or_b32 exec_lo, exec_lo, s5
.LBB6_6:
	s_andn2_saveexec_b32 s4, s4
	s_cbranch_execz .LBB6_8
; %bb.7:
	s_clause 0x1
	flat_load_dwordx2 v[4:5], v[2:3] offset:72
	flat_load_dwordx2 v[38:39], v[2:3] offset:96
	v_mov_b32_e32 v14, 0
	v_mov_b32_e32 v15, 0
.LBB6_8:
	s_or_b32 exec_lo, exec_lo, s4
	flat_load_dwordx4 v[10:13], v[2:3] offset:16
	v_and_b32_e32 v2, 0x44000000, v16
	v_bfe_u32 v3, v8, 1, 30
	s_mov_b32 s4, exec_lo
	v_cmp_eq_u32_e64 s13, 0x44000000, v2
	v_cndmask_b32_e64 v2, v1, 32, s13
	v_cmpx_ge_i32_e64 v0, v2
	s_xor_b32 s5, exec_lo, s4
	s_cbranch_execnz .LBB6_11
; %bb.9:
	s_andn2_saveexec_b32 s15, s5
	s_cbranch_execnz .LBB6_40
.LBB6_10:
	s_or_b32 exec_lo, exec_lo, s15
	s_waitcnt vmcnt(0) lgkmcnt(0)
	s_setpc_b64 s[30:31]
.LBB6_11:
	s_waitcnt vmcnt(0) lgkmcnt(0)
	v_cmp_ne_u64_e32 vcc_lo, v[12:13], v[10:11]
	v_cmp_eq_u32_e64 s4, v48, v3
	s_and_b32 s4, vcc_lo, s4
	s_and_saveexec_b32 s6, s4
	s_cbranch_execz .LBB6_39
; %bb.12:
	v_sub_nc_u32_e32 v16, v0, v2
	v_add_co_u32 v3, vcc_lo, v12, v14
	v_add_co_ci_u32_e64 v8, null, v13, v15, vcc_lo
	v_ashrrev_i16 v0, 15, v16
	v_add_co_u32 v18, vcc_lo, v10, v14
	v_add_co_ci_u32_e64 v19, null, v11, v15, vcc_lo
	v_lshrrev_b16 v0, 11, v0
	s_mov_b32 s4, 0
	s_mov_b32 s7, exec_lo
	v_add_nc_u16 v0, v16, v0
	v_and_b32_e32 v6, 0xffffffe0, v0
	v_sub_nc_u16 v17, v16, v6
	v_cmpx_gt_i16_e32 1, v17
; %bb.13:
	v_or_b32_e32 v6, v3, v18
	v_and_b32_e32 v6, 15, v6
	v_cmp_ne_u32_e32 vcc_lo, 0, v6
	s_and_b32 s4, vcc_lo, exec_lo
; %bb.14:
	s_or_b32 exec_lo, exec_lo, s7
	v_cndmask_b32_e64 v6, 0, 1, s4
	v_sub_nc_u32_e32 v9, v1, v2
	v_cmp_ne_u32_e32 vcc_lo, 0, v6
	s_cbranch_vccz .LBB6_16
; %bb.15:
	v_mov_b32_e32 v0, 0
	v_mov_b32_e32 v1, 0
	s_mov_b32 s4, -1
	s_and_b32 exec_lo, exec_lo, s4
	s_cbranch_execnz .LBB6_31
	s_branch .LBB6_39
.LBB6_16:
	v_ashrrev_i32_e32 v1, 31, v5
	v_ashrrev_i16 v2, 5, v0
	s_mov_b32 s10, 0
	s_mov_b32 s7, exec_lo
	v_lshrrev_b32_e32 v1, 21, v1
	v_bfe_i32 v2, v2, 0, 16
	v_add_co_u32 v0, vcc_lo, v4, v1
	v_add_co_ci_u32_e64 v1, null, 0, v5, vcc_lo
	v_ashrrev_i32_e32 v7, 31, v2
	v_ashrrev_i64 v[0:1], 11, v[0:1]
	v_sub_co_u32 v6, vcc_lo, v0, v2
	v_sub_co_ci_u32_e64 v7, null, v1, v7, vcc_lo
	v_cmpx_lt_i64_e32 0, v[6:7]
	s_cbranch_execz .LBB6_20
; %bb.17:
	v_ashrrev_i16 v16, 15, v9
	v_mov_b32_e32 v20, 4
	v_mov_b32_e32 v22, 11
	v_lshrrev_b16 v16, 11, v16
	v_lshlrev_b32_sdwa v20, v20, sext(v17) dst_sel:DWORD dst_unused:UNUSED_PAD src0_sel:DWORD src1_sel:WORD_0
	v_add_nc_u16 v16, v9, v16
	v_lshl_add_u32 v2, v2, 11, v20
	v_ashrrev_i16 v21, 5, v16
	v_bfe_i32 v16, v21, 0, 16
	v_lshlrev_b32_sdwa v20, v22, sext(v21) dst_sel:DWORD dst_unused:UNUSED_PAD src0_sel:DWORD src1_sel:WORD_0
	v_ashrrev_i32_e32 v21, 31, v2
	v_ashrrev_i32_e32 v22, 31, v16
	;; [unrolled: 1-line block ×3, first 2 shown]
	s_inst_prefetch 0x1
	.p2align	6
.LBB6_18:                               ; =>This Inner Loop Header: Depth=1
	v_add_co_u32 v36, vcc_lo, v2, v3
	v_add_co_ci_u32_e64 v37, null, v21, v8, vcc_lo
	v_add_co_u32 v48, vcc_lo, v2, v18
	v_add_co_ci_u32_e64 v49, null, v21, v19, vcc_lo
	s_clause 0x3
	global_load_dwordx4 v[24:27], v[36:37], off slc
	global_load_dwordx4 v[28:31], v[36:37], off offset:512 slc
	global_load_dwordx4 v[32:35], v[36:37], off offset:1024 slc
	;; [unrolled: 1-line block ×3, first 2 shown]
	v_sub_co_u32 v6, vcc_lo, v6, v16
	v_sub_co_ci_u32_e64 v7, null, v7, v22, vcc_lo
	v_add_co_u32 v3, vcc_lo, v3, v20
	v_add_co_ci_u32_e64 v8, null, v8, v23, vcc_lo
	v_cmp_gt_i64_e32 vcc_lo, 1, v[6:7]
	v_add_co_u32 v18, s4, v18, v20
	v_add_co_ci_u32_e64 v19, null, v19, v23, s4
	s_waitcnt vmcnt(3)
	global_store_dwordx4 v[48:49], v[24:27], off glc slc
	s_waitcnt vmcnt(2)
	global_store_dwordx4 v[48:49], v[28:31], off offset:512 glc slc
	s_waitcnt vmcnt(1)
	global_store_dwordx4 v[48:49], v[32:35], off offset:1024 glc slc
	;; [unrolled: 2-line block ×3, first 2 shown]
	s_or_b32 s10, vcc_lo, s10
	s_andn2_b32 exec_lo, exec_lo, s10
	s_cbranch_execnz .LBB6_18
; %bb.19:
	s_inst_prefetch 0x2
	s_or_b32 exec_lo, exec_lo, s10
.LBB6_20:
	s_or_b32 exec_lo, exec_lo, s7
	v_lshlrev_b64 v[7:8], 11, v[0:1]
	v_mov_b32_e32 v0, 0
	v_mov_b32_e32 v1, 0
	s_mov_b32 s4, 0
	s_mov_b32 s7, exec_lo
                                        ; implicit-def: $vgpr2_vgpr3
                                        ; implicit-def: $vgpr16
	v_cmpx_ne_u64_e64 v[4:5], v[7:8]
	s_cbranch_execz .LBB6_30
; %bb.21:
	v_sub_co_u32 v16, vcc_lo, v4, v7
	v_sub_co_ci_u32_e64 v20, null, v5, v8, vcc_lo
	v_mov_b32_e32 v5, 0
	v_ashrrev_i32_e32 v0, 31, v20
	v_lshrrev_b32_e32 v0, 23, v0
	v_add_co_u32 v0, vcc_lo, v16, v0
	v_add_co_ci_u32_e64 v1, null, 0, v20, vcc_lo
	v_and_b32_e32 v21, 0xfffffe00, v0
	v_ashrrev_i64 v[18:19], 9, v[0:1]
	v_sub_co_u32 v2, vcc_lo, v16, v21
	v_add_co_u32 v0, s4, v21, v7
	v_sub_co_ci_u32_e64 v3, null, v20, v1, vcc_lo
	v_add_co_ci_u32_e64 v1, null, v1, v8, s4
	s_mov_b32 s4, exec_lo
	v_cmpx_lt_i64_e32 15, v[2:3]
	s_cbranch_execz .LBB6_23
; %bb.22:
	v_and_b32_e32 v4, 15, v4
	v_sub_co_u32 v2, vcc_lo, v2, v4
	v_subrev_co_ci_u32_e64 v3, null, 0, v3, vcc_lo
	v_add_co_u32 v18, vcc_lo, v18, 1
	v_add_co_ci_u32_e64 v19, null, 0, v19, vcc_lo
	v_add_co_u32 v0, vcc_lo, v2, v0
	v_add_co_ci_u32_e64 v1, null, v3, v1, vcc_lo
	v_mov_b32_e32 v2, v4
	v_mov_b32_e32 v3, v5
.LBB6_23:
	s_or_b32 exec_lo, exec_lo, s4
	v_lshlrev_b32_e32 v4, 5, v6
	s_mov_b32 s10, exec_lo
	v_sub_nc_u32_sdwa v4, sext(v17), v4 dst_sel:DWORD dst_unused:UNUSED_PAD src0_sel:WORD_0 src1_sel:DWORD
	v_ashrrev_i32_e32 v5, 31, v4
	v_lshrrev_b32_e32 v5, 27, v5
	v_add_nc_u32_e32 v5, v4, v5
	v_and_b32_e32 v6, 0xffffffe0, v5
	v_sub_nc_u32_e32 v6, v4, v6
	v_ashrrev_i32_e32 v4, 5, v5
	v_lshlrev_b32_e32 v5, 4, v6
	v_lshl_add_u32 v21, v4, 9, v5
	v_ashrrev_i32_e32 v5, 31, v4
	v_sub_co_u32 v4, s4, v18, v4
	v_ashrrev_i32_e32 v22, 31, v21
	v_sub_co_u32 v16, vcc_lo, v16, v21
	v_sub_co_ci_u32_e64 v5, null, v19, v5, s4
	v_sub_co_ci_u32_e64 v17, null, v20, v22, vcc_lo
	v_cmpx_lt_i64_e32 15, v[16:17]
	s_cbranch_execz .LBB6_27
; %bb.24:
	v_ashrrev_i16 v18, 15, v9
	v_mov_b32_e32 v20, 9
	s_mov_b32 s11, 0
	v_lshrrev_b16 v18, 11, v18
	v_add_nc_u16 v18, v9, v18
	v_ashrrev_i16 v19, 5, v18
	v_bfe_i32 v18, v19, 0, 16
	v_lshlrev_b32_sdwa v19, v20, sext(v19) dst_sel:DWORD dst_unused:UNUSED_PAD src0_sel:DWORD src1_sel:WORD_0
	v_add_co_u32 v20, vcc_lo, v14, v7
	v_add_co_ci_u32_e64 v23, null, v15, v8, vcc_lo
	v_ashrrev_i32_e32 v7, 31, v19
	v_add_co_u32 v20, vcc_lo, v20, v21
	v_ashrrev_i32_e32 v8, 31, v18
	v_add_co_ci_u32_e64 v21, null, v23, v22, vcc_lo
	.p2align	6
.LBB6_25:                               ; =>This Inner Loop Header: Depth=1
	v_add_co_u32 v22, vcc_lo, v12, v20
	v_add_co_ci_u32_e64 v23, null, v13, v21, vcc_lo
	v_add_co_u32 v26, vcc_lo, v10, v20
	v_add_co_ci_u32_e64 v27, null, v11, v21, vcc_lo
	global_load_dwordx4 v[22:25], v[22:23], off slc
	v_sub_co_u32 v16, vcc_lo, v16, v19
	v_sub_co_ci_u32_e64 v17, null, v17, v7, vcc_lo
	v_sub_co_u32 v4, vcc_lo, v4, v18
	v_sub_co_ci_u32_e64 v5, null, v5, v8, vcc_lo
	v_cmp_gt_i64_e32 vcc_lo, 16, v[16:17]
	v_add_co_u32 v20, s4, v20, v19
	v_add_co_ci_u32_e64 v21, null, v21, v7, s4
	s_or_b32 s11, vcc_lo, s11
	s_waitcnt vmcnt(0)
	global_store_dwordx4 v[26:27], v[22:25], off glc slc
	s_andn2_b32 exec_lo, exec_lo, s11
	s_cbranch_execnz .LBB6_25
; %bb.26:
	s_or_b32 exec_lo, exec_lo, s11
.LBB6_27:
	s_or_b32 exec_lo, exec_lo, s10
	s_mov_b32 s4, exec_lo
	v_cmpx_lt_i64_e32 0, v[4:5]
	s_cbranch_execz .LBB6_29
; %bb.28:
	v_ashrrev_i16 v7, 15, v9
	v_lshrrev_b16 v7, 11, v7
	v_add_nc_u16 v7, v9, v7
	v_ashrrev_i16 v7, 5, v7
	v_bfe_i32 v7, v7, 0, 16
	v_ashrrev_i32_e32 v8, 31, v7
	v_sub_co_u32 v4, vcc_lo, v4, v7
	v_sub_co_ci_u32_e64 v5, null, v5, v8, vcc_lo
.LBB6_29:
	s_or_b32 exec_lo, exec_lo, s4
	v_lshlrev_b32_e32 v4, 5, v4
	v_cmp_ne_u64_e32 vcc_lo, 0, v[2:3]
	v_sub_nc_u32_e32 v16, v6, v4
	s_and_b32 s4, vcc_lo, exec_lo
.LBB6_30:
	s_or_b32 exec_lo, exec_lo, s7
	v_mov_b32_e32 v5, v3
	v_mov_b32_e32 v4, v2
	s_and_b32 exec_lo, exec_lo, s4
	s_cbranch_execz .LBB6_39
.LBB6_31:
	v_ashrrev_i32_e32 v2, 31, v16
	v_ashrrev_i32_e32 v3, 31, v5
	s_mov_b32 s4, exec_lo
	v_lshrrev_b32_e32 v2, 27, v2
	v_lshrrev_b32_e32 v3, 23, v3
	v_add_nc_u32_e32 v17, v16, v2
	v_add_co_u32 v2, vcc_lo, v4, v3
	v_add_co_ci_u32_e64 v3, null, 0, v5, vcc_lo
	v_ashrrev_i32_e32 v8, 5, v17
	v_ashrrev_i64 v[6:7], 9, v[2:3]
	v_ashrrev_i32_e32 v3, 31, v8
	v_sub_co_u32 v2, vcc_lo, v6, v8
	v_sub_co_ci_u32_e64 v3, null, v7, v3, vcc_lo
	v_cmpx_lt_i64_e32 0, v[2:3]
	s_cbranch_execz .LBB6_35
; %bb.32:
	v_ashrrev_i16 v18, 15, v9
	v_and_b32_e32 v17, 0xffffffe0, v17
	v_mov_b32_e32 v19, 9
	v_add_co_u32 v25, vcc_lo, v14, v0
	v_lshrrev_b16 v18, 11, v18
	v_sub_nc_u32_e32 v17, v16, v17
	v_add_co_ci_u32_e64 v26, null, v15, v1, vcc_lo
	s_mov_b32 s7, 0
	v_add_nc_u16 v18, v9, v18
	v_lshl_add_u32 v17, v8, 9, v17
	v_ashrrev_i16 v20, 5, v18
	v_ashrrev_i32_e32 v22, 31, v17
	v_bfe_i32 v18, v20, 0, 16
	v_lshlrev_b32_sdwa v19, v19, sext(v20) dst_sel:DWORD dst_unused:UNUSED_PAD src0_sel:DWORD src1_sel:WORD_0
	v_add_co_u32 v20, vcc_lo, v25, v12
	v_add_co_ci_u32_e64 v21, null, v26, v13, vcc_lo
	v_add_co_u32 v25, vcc_lo, v25, v10
	v_ashrrev_i32_e32 v23, 31, v18
	v_ashrrev_i32_e32 v24, 31, v19
	v_add_co_ci_u32_e64 v26, null, v26, v11, vcc_lo
.LBB6_33:                               ; =>This Inner Loop Header: Depth=1
	v_add_co_u32 v27, vcc_lo, v17, v20
	v_add_co_ci_u32_e64 v28, null, v22, v21, vcc_lo
	s_clause 0xf
	flat_load_ubyte v29, v[27:28] slc
	flat_load_ubyte v30, v[27:28] offset:32 slc
	flat_load_ubyte v31, v[27:28] offset:64 slc
	;; [unrolled: 1-line block ×15, first 2 shown]
	v_add_co_u32 v27, vcc_lo, v17, v25
	v_add_co_ci_u32_e64 v28, null, v22, v26, vcc_lo
	v_sub_co_u32 v2, vcc_lo, v2, v18
	v_sub_co_ci_u32_e64 v3, null, v3, v23, vcc_lo
	v_add_co_u32 v20, vcc_lo, v20, v19
	v_add_co_ci_u32_e64 v21, null, v21, v24, vcc_lo
	v_add_co_u32 v25, vcc_lo, v25, v19
	v_add_co_ci_u32_e64 v26, null, v26, v24, vcc_lo
	v_cmp_gt_i64_e32 vcc_lo, 1, v[2:3]
	s_waitcnt vmcnt(15) lgkmcnt(15)
	flat_store_byte v[27:28], v29 glc slc
	s_waitcnt vmcnt(14) lgkmcnt(15)
	flat_store_byte v[27:28], v30 offset:32 glc slc
	s_waitcnt vmcnt(13) lgkmcnt(15)
	flat_store_byte v[27:28], v31 offset:64 glc slc
	;; [unrolled: 2-line block ×15, first 2 shown]
	s_or_b32 s7, vcc_lo, s7
	s_andn2_b32 exec_lo, exec_lo, s7
	s_cbranch_execnz .LBB6_33
; %bb.34:
	s_or_b32 exec_lo, exec_lo, s7
.LBB6_35:
	s_or_b32 exec_lo, exec_lo, s4
	v_lshlrev_b64 v[6:7], 9, v[6:7]
	v_cmp_ne_u64_e32 vcc_lo, v[4:5], v[6:7]
	s_and_b32 exec_lo, exec_lo, vcc_lo
	s_cbranch_execz .LBB6_39
; %bb.36:
	v_lshlrev_b32_e32 v3, 5, v8
	v_lshlrev_b32_e32 v2, 5, v2
	v_sub_nc_u32_e32 v3, v16, v3
	v_sub_nc_u32_e32 v8, v3, v2
	v_ashrrev_i32_e32 v16, 31, v8
	v_add_co_u32 v2, vcc_lo, v6, v8
	v_add_co_ci_u32_e64 v3, null, v7, v16, vcc_lo
	v_sub_co_u32 v2, vcc_lo, v4, v2
	v_sub_co_ci_u32_e64 v3, null, v5, v3, vcc_lo
	v_cmp_lt_i64_e32 vcc_lo, 0, v[2:3]
	s_and_b32 exec_lo, exec_lo, vcc_lo
	s_cbranch_execz .LBB6_39
; %bb.37:
	v_ashrrev_i16 v4, 15, v9
	v_mov_b32_e32 v5, 5
	s_mov_b32 s7, 0
	v_lshrrev_b16 v4, 11, v4
	v_add_nc_u16 v4, v9, v4
	v_add_co_u32 v9, vcc_lo, v14, v0
	v_add_co_ci_u32_e64 v1, null, v15, v1, vcc_lo
	v_ashrrev_i16 v4, 5, v4
	v_lshlrev_b32_sdwa v0, v5, sext(v4) dst_sel:DWORD dst_unused:UNUSED_PAD src0_sel:DWORD src1_sel:WORD_0
	v_add_co_u32 v4, vcc_lo, v9, v6
	v_add_co_ci_u32_e64 v5, null, v1, v7, vcc_lo
	v_ashrrev_i32_e32 v1, 31, v0
	v_add_co_u32 v4, vcc_lo, v4, v8
	v_add_co_ci_u32_e64 v5, null, v5, v16, vcc_lo
	.p2align	6
.LBB6_38:                               ; =>This Inner Loop Header: Depth=1
	v_add_co_u32 v6, vcc_lo, v12, v4
	v_add_co_ci_u32_e64 v7, null, v13, v5, vcc_lo
	v_sub_co_u32 v2, vcc_lo, v2, v0
	v_sub_co_ci_u32_e64 v3, null, v3, v1, vcc_lo
	flat_load_ubyte v8, v[6:7] slc
	v_add_co_u32 v6, vcc_lo, v10, v4
	v_add_co_ci_u32_e64 v7, null, v11, v5, vcc_lo
	v_cmp_gt_i64_e32 vcc_lo, 1, v[2:3]
	v_add_co_u32 v4, s4, v4, v0
	v_add_co_ci_u32_e64 v5, null, v5, v1, s4
	s_or_b32 s7, vcc_lo, s7
	s_waitcnt vmcnt(0) lgkmcnt(0)
	flat_store_byte v[6:7], v8 glc slc
	s_andn2_b32 exec_lo, exec_lo, s7
	s_cbranch_execnz .LBB6_38
.LBB6_39:
	s_or_b32 exec_lo, exec_lo, s6
                                        ; implicit-def: $vgpr48_vgpr49
                                        ; implicit-def: $vgpr14_vgpr15
                                        ; implicit-def: $vgpr4_vgpr5
                                        ; implicit-def: $vgpr38_vgpr39
                                        ; implicit-def: $vgpr3
                                        ; implicit-def: $vgpr2
                                        ; implicit-def: $vgpr0
                                        ; implicit-def: $vgpr31
                                        ; implicit-def: $vgpr12_vgpr13
                                        ; implicit-def: $vgpr8_vgpr9
	s_andn2_saveexec_b32 s15, s5
	s_cbranch_execz .LBB6_10
.LBB6_40:
	s_load_dword s4, s[8:9], 0x0
	v_mov_b32_e32 v7, 0
	v_ashrrev_i32_e32 v1, 31, v0
	s_waitcnt vmcnt(2)
	v_lshrrev_b64 v[8:9], 31, v[8:9]
	v_lshrrev_b32_e32 v16, 27, v1
	v_and_b32_e32 v8, 3, v8
	v_add_nc_u32_e32 v16, v0, v16
	v_and_b32_e32 v24, 0xffff, v8
	v_and_b32_e32 v9, 0xffffffe0, v16
	v_mov_b32_e32 v16, 0
	v_mov_b32_e32 v17, 0
	s_waitcnt lgkmcnt(0)
	s_cmp_lt_u32 s12, s4
	v_sub_nc_u32_e32 v28, v0, v9
	s_cselect_b32 s4, 12, 18
	s_add_u32 s4, s8, s4
	s_addc_u32 s5, s9, 0
	global_load_ushort v30, v7, s[4:5]
	s_trap 2
	ds_read_b32 v6, v0
	v_cmp_eq_u32_e64 s4, 0, v28
	s_mov_b32 s5, 0
	s_waitcnt lgkmcnt(0)
	v_cmp_gt_i32_e32 vcc_lo, 0, v6
	v_readfirstlane_b32 s11, v6
	s_cbranch_vccnz .LBB6_42
; %bb.41:
	s_trap 2
	ds_read_b64 v[8:9], v0
	v_lshlrev_b64 v[6:7], 3, v[6:7]
	s_mov_b32 s5, 1
	s_waitcnt lgkmcnt(0)
	v_add_co_u32 v6, vcc_lo, v8, v6
	v_add_co_ci_u32_e64 v7, null, v9, v7, vcc_lo
	flat_load_dwordx2 v[6:7], v[6:7]
	s_waitcnt vmcnt(0) lgkmcnt(0)
	v_mad_u64_u32 v[6:7], null, 0xa8, v24, v[6:7]
	s_clause 0x1
	flat_load_dwordx2 v[20:21], v[6:7] offset:504
	flat_load_dwordx2 v[22:23], v[6:7] offset:608
	v_add_co_u32 v18, vcc_lo, 0x1f8, v6
	v_add_co_ci_u32_e64 v19, null, 0, v7, vcc_lo
	v_cndmask_b32_e64 v8, 0, v18, s4
	v_cndmask_b32_e64 v9, 0, v19, s4
	s_branch .LBB6_43
.LBB6_42:
	v_mov_b32_e32 v18, 0
	v_mov_b32_e32 v8, 0
	;; [unrolled: 1-line block ×4, first 2 shown]
                                        ; implicit-def: $vgpr22_vgpr23
                                        ; implicit-def: $vgpr20_vgpr21
.LBB6_43:
	s_trap 2
	ds_read_b32 v6, v0
	s_waitcnt lgkmcnt(0)
	v_cmp_gt_i32_e32 vcc_lo, 0, v6
	s_cbranch_vccnz .LBB6_45
; %bb.44:
	s_trap 2
	ds_read_b64 v[16:17], v0
	v_mov_b32_e32 v7, 0
	v_lshlrev_b64 v[6:7], 3, v[6:7]
	s_waitcnt lgkmcnt(0)
	v_add_co_u32 v6, vcc_lo, v16, v6
	v_add_co_ci_u32_e64 v7, null, v17, v7, vcc_lo
	v_cmp_eq_u32_e32 vcc_lo, 0, v28
	flat_load_dwordx2 v[6:7], v[6:7]
	s_waitcnt vmcnt(0) lgkmcnt(0)
	v_mad_u64_u32 v[16:17], null, 0xa8, v24, v[6:7]
	s_clause 0x1
	flat_load_dwordx2 v[24:25], v[16:17]
	flat_load_dwordx2 v[26:27], v[16:17] offset:104
	v_cndmask_b32_e32 v37, 0, v17, vcc_lo
	v_cndmask_b32_e32 v36, 0, v16, vcc_lo
	s_branch .LBB6_46
.LBB6_45:
	v_mov_b32_e32 v36, 0
	v_mov_b32_e32 v37, 0
                                        ; implicit-def: $vgpr26_vgpr27
                                        ; implicit-def: $vgpr24_vgpr25
.LBB6_46:
	v_subrev_nc_u32_e32 v6, 32, v2
	v_cmp_gt_i32_e32 vcc_lo, s5, v28
	v_mov_b32_e32 v32, 0
	v_mov_b32_e32 v33, 0
                                        ; implicit-def: $vgpr28_vgpr29
	v_cmp_ge_i32_e64 s4, v0, v6
	v_mov_b32_e32 v6, 0
	v_mov_b32_e32 v7, 0
	s_and_b32 s16, s4, vcc_lo
	s_and_saveexec_b32 s4, s16
	s_cbranch_execz .LBB6_48
; %bb.47:
	s_clause 0x1
	flat_load_dwordx2 v[32:33], v[8:9] offset:56
	flat_load_dwordx2 v[28:29], v[8:9] offset:104
.LBB6_48:
	s_or_b32 exec_lo, exec_lo, s4
	v_mov_b32_e32 v34, 0
	v_mov_b32_e32 v35, 0
	v_cmp_gt_i32_e64 s4, s5, v0
                                        ; implicit-def: $vgpr50_vgpr51
	s_and_saveexec_b32 s5, s4
	s_cbranch_execz .LBB6_50
; %bb.49:
	flat_load_dwordx2 v[34:35], v[36:37] offset:56
	s_waitcnt vmcnt(0) lgkmcnt(0)
	flat_load_dwordx2 v[50:51], v[34:35] glc dlc
	s_waitcnt vmcnt(0)
	flat_load_dwordx4 v[6:9], v[36:37] offset:96
.LBB6_50:
	s_or_b32 exec_lo, exec_lo, s5
	v_mov_b32_e32 v36, 0
	v_mov_b32_e32 v37, 0
	s_mov_b32 s17, exec_lo
	v_cmpx_ne_u64_e32 0, v[4:5]
	s_cbranch_execnz .LBB6_66
; %bb.51:
	s_or_b32 exec_lo, exec_lo, s17
	s_and_saveexec_b32 s5, s16
	s_cbranch_execnz .LBB6_339
.LBB6_52:
	s_or_b32 exec_lo, exec_lo, s5
	s_and_saveexec_b32 s5, s4
	s_cbranch_execz .LBB6_54
.LBB6_53:
	s_waitcnt vmcnt(0) lgkmcnt(0)
	flat_store_dwordx2 v[16:17], v[8:9] offset:104
.LBB6_54:
	s_or_b32 exec_lo, exec_lo, s5
	s_mov_b32 s4, exec_lo
	v_cmpx_ne_u32_e32 32, v2
	s_cbranch_execz .LBB6_346
; %bb.55:
	s_waitcnt vmcnt(0)
	v_cmp_ne_u32_sdwa s5, v2, v30 src0_sel:DWORD src1_sel:WORD_0
	s_and_saveexec_b32 s6, s5
	s_xor_b32 s5, exec_lo, s6
	s_cbranch_execz .LBB6_344
; %bb.56:
	v_and_b32_e32 v0, 31, v31
	s_mov_b32 s6, exec_lo
	v_cmpx_eq_u32_e32 0, v0
	s_cbranch_execz .LBB6_343
; %bb.57:
	s_mov_b32 s8, exec_lo
	s_mov_b32 s7, exec_lo
	v_mbcnt_lo_u32_b32 v0, s8, 0
	s_waitcnt lgkmcnt(0)
	s_waitcnt_vscnt null, 0x0
	buffer_gl1_inv
	buffer_gl0_inv
	v_cmpx_eq_u32_e32 0, v0
	s_cbranch_execz .LBB6_59
; %bb.58:
	s_bcnt1_i32_b32 s8, s8
	v_mov_b32_e32 v1, 0
	v_mov_b32_e32 v0, s8
	ds_add_u64 v0, v[0:1]
	s_trap 2
.LBB6_59:
	s_or_b32 exec_lo, exec_lo, s7
	s_trap 2
	ds_read_b64 v[3:4], v0
	s_waitcnt lgkmcnt(0)
	buffer_gl0_inv
	v_lshrrev_b32_e32 v0, 5, v2
	s_mov_b32 s7, exec_lo
	v_add_co_u32 v0, vcc_lo, v36, v0
	v_add_co_ci_u32_e64 v1, null, 0, v37, vcc_lo
	v_cmpx_lt_u64_e64 v[3:4], v[0:1]
	s_cbranch_execz .LBB6_342
; %bb.60:
	s_mov_b32 s8, 0
	s_mov_b32 s11, 0
                                        ; implicit-def: $sgpr9
                                        ; implicit-def: $sgpr10
	s_inst_prefetch 0x1
	s_branch .LBB6_62
	.p2align	6
.LBB6_61:                               ;   in Loop: Header=BB6_62 Depth=1
	s_or_b32 exec_lo, exec_lo, s13
	s_and_b32 s12, exec_lo, s14
	s_or_b32 s8, s12, s8
	s_andn2_b32 s9, s9, exec_lo
	s_and_b32 s12, s10, exec_lo
	s_or_b32 s9, s9, s12
	s_andn2_b32 exec_lo, exec_lo, s8
	s_cbranch_execz .LBB6_340
.LBB6_62:                               ; =>This Inner Loop Header: Depth=1
	s_add_i32 s11, s11, 1
	s_cmpk_lg_i32 s11, 0x2710
	s_cselect_b32 s12, -1, 0
	s_and_b32 vcc_lo, exec_lo, s12
	s_cbranch_vccz .LBB6_64
; %bb.63:                               ;   in Loop: Header=BB6_62 Depth=1
	s_mov_b32 s14, -1
	s_or_b32 s10, s10, exec_lo
	s_and_saveexec_b32 s13, s12
	s_cbranch_execz .LBB6_61
	s_branch .LBB6_65
	.p2align	6
.LBB6_64:                               ;   in Loop: Header=BB6_62 Depth=1
	s_trap 2
	ds_read_b64 v[2:3], v0
	s_andn2_b32 s12, s12, exec_lo
	s_mov_b32 s11, 0
	s_waitcnt lgkmcnt(0)
	flat_load_dword v2, v[2:3] glc dlc
	s_waitcnt vmcnt(0) lgkmcnt(0)
	buffer_gl1_inv
	buffer_gl0_inv
	v_cmp_eq_u32_e32 vcc_lo, 0, v2
	s_and_b32 s13, vcc_lo, exec_lo
	s_or_b32 s12, s12, s13
	s_mov_b32 s14, -1
	s_or_b32 s10, s10, exec_lo
	s_and_saveexec_b32 s13, s12
	s_cbranch_execz .LBB6_61
.LBB6_65:                               ;   in Loop: Header=BB6_62 Depth=1
	s_sleep 1
	s_trap 2
	ds_read_b64 v[2:3], v0
	s_waitcnt lgkmcnt(0)
	buffer_gl0_inv
	s_andn2_b32 s10, s10, exec_lo
	v_cmp_ge_u64_e32 vcc_lo, v[2:3], v[0:1]
	s_orn2_b32 s14, vcc_lo, exec_lo
	s_branch .LBB6_61
.LBB6_66:
	v_cvt_f64_u32_e32 v[36:37], 0
	s_waitcnt vmcnt(2)
	v_lshlrev_b32_e32 v52, 4, v38
	v_lshlrev_b32_e32 v84, 3, v0
	s_ashr_i32 s12, s11, 31
	v_mov_b32_e32 v39, 0
	s_lshr_b32 s12, s12, 29
	v_and_b32_e32 v82, 0x1fffff0, v52
	v_ashrrev_i32_e32 v54, 31, v84
	s_add_i32 s14, s11, s12
	v_add_co_u32 v66, s12, v14, v84
	v_cvt_f64_u32_e32 v[64:65], v82
	v_add_co_ci_u32_e64 v67, null, v15, v54, s12
	s_ashr_i32 s19, s14, 7
	s_waitcnt vmcnt(1)
	v_add_co_u32 v86, s14, v10, v84
	v_cmp_ne_u32_e64 s5, v48, v3
	v_cmp_ne_u32_e64 s6, v49, v3
	v_and_b32_e32 v3, 31, v31
	v_add_co_ci_u32_e64 v87, null, v11, v54, s14
	v_ldexp_f64 v[36:37], v[36:37], 32
	v_add_co_u32 v54, s12, v66, v12
	v_cmp_ne_u64_e32 vcc_lo, v[12:13], v[10:11]
	v_add_co_ci_u32_e64 v55, null, v67, v13, s12
	v_lshlrev_b64 v[12:13], 4, v[0:1]
	v_cmp_eq_u32_e64 s11, 0, v3
	v_mov_b32_e32 v3, v39
	v_and_b32_e32 v38, 0x1fffff, v38
	v_add_co_u32 v1, s12, v10, v66
	v_add_co_ci_u32_e64 v99, null, v11, v67, s12
	s_waitcnt lgkmcnt(1)
	v_add_co_u32 v100, s12, v24, v12
	v_mov_b32_e32 v48, 0
	v_cmp_ne_u64_e64 s7, 0, v[34:35]
	s_waitcnt vmcnt(0) lgkmcnt(0)
	v_cmp_ne_u64_e64 s8, 0, v[6:7]
	v_cmp_ne_u64_e64 s10, 0, v[32:33]
	v_lshlrev_b64 v[52:53], 4, v[2:3]
	v_mov_b32_e32 v49, 0
	v_add_f64 v[64:65], v[36:37], v[64:65]
	v_mov_b32_e32 v36, 0
	v_cmp_ne_u32_e64 s9, 32, v2
	v_cmp_ne_u32_sdwa s18, v2, v30 src0_sel:DWORD src1_sel:WORD_0
	v_lshrrev_b32_e32 v83, 5, v2
	v_lshlrev_b32_e32 v85, 3, v2
	v_not_b32_e32 v3, v84
	v_lshlrev_b32_e32 v96, 3, v54
	v_lshlrev_b32_e32 v97, 7, v38
	;; [unrolled: 1-line block ×3, first 2 shown]
	v_add_co_ci_u32_e64 v101, null, v25, v13, s12
	v_mov_b32_e32 v102, 1
	v_mov_b32_e32 v37, 0
	;; [unrolled: 1-line block ×3, first 2 shown]
	s_xor_b32 s12, s13, -1
	s_mov_b32 s13, 0
	s_and_b32 s14, s12, vcc_lo
	s_branch .LBB6_70
.LBB6_67:                               ;   in Loop: Header=BB6_70 Depth=1
	s_or_b32 exec_lo, exec_lo, s22
	v_add_co_u32 v26, vcc_lo, v26, 1
	v_add_co_ci_u32_e64 v27, null, 0, v27, vcc_lo
.LBB6_68:                               ;   in Loop: Header=BB6_70 Depth=1
	s_or_b32 exec_lo, exec_lo, s21
.LBB6_69:                               ;   in Loop: Header=BB6_70 Depth=1
	s_or_b32 exec_lo, exec_lo, s20
	v_add_co_u32 v48, vcc_lo, v48, v82
	v_add_co_ci_u32_e64 v49, null, 0, v49, vcc_lo
	v_add_co_u32 v54, vcc_lo, v54, v82
	v_add_co_ci_u32_e64 v55, null, 0, v55, vcc_lo
	v_cmp_ge_u64_e32 vcc_lo, v[48:49], v[4:5]
	v_add_co_u32 v1, s12, v1, v82
	v_add_nc_u32_e32 v96, v96, v97
	v_add_co_ci_u32_e64 v99, null, 0, v99, s12
	s_or_b32 s13, vcc_lo, s13
	s_andn2_b32 exec_lo, exec_lo, s13
	s_cbranch_execz .LBB6_338
.LBB6_70:                               ; =>This Loop Header: Depth=1
                                        ;     Child Loop BB6_77 Depth 2
                                        ;     Child Loop BB6_96 Depth 2
	;; [unrolled: 1-line block ×3, first 2 shown]
                                        ;       Child Loop BB6_140 Depth 3
                                        ;     Child Loop BB6_206 Depth 2
                                        ;     Child Loop BB6_113 Depth 2
                                        ;     Child Loop BB6_168 Depth 2
                                        ;       Child Loop BB6_172 Depth 3
                                        ;     Child Loop BB6_218 Depth 2
                                        ;     Child Loop BB6_128 Depth 2
	;; [unrolled: 1-line block ×9, first 2 shown]
	s_waitcnt vmcnt(0)
	v_sub_co_u32 v12, vcc_lo, v4, v48
	v_sub_co_ci_u32_e64 v10, null, v5, v49, vcc_lo
	v_cvt_f64_u32_e32 v[12:13], v12
	v_cvt_f64_u32_e32 v[10:11], v10
	v_ldexp_f64 v[10:11], v[10:11], 32
	v_add_f64 v[10:11], v[10:11], v[12:13]
	v_max_f64 v[12:13], v[64:65], v[64:65]
	v_min_f64 v[10:11], v[12:13], v[10:11]
	v_cvt_i32_f64_e32 v10, v[10:11]
	v_max_i32_e32 v12, 0, v10
	s_and_saveexec_b32 s12, s5
	s_xor_b32 s20, exec_lo, s12
	s_cbranch_execz .LBB6_121
; %bb.71:                               ;   in Loop: Header=BB6_70 Depth=1
	v_add_co_u32 v13, vcc_lo, v48, v14
	v_add_co_ci_u32_e64 v67, null, v49, v15, vcc_lo
	s_and_saveexec_b32 s12, s6
	s_xor_b32 s21, exec_lo, s12
	s_cbranch_execz .LBB6_115
; %bb.72:                               ;   in Loop: Header=BB6_70 Depth=1
	s_and_saveexec_b32 s22, s7
	s_cbranch_execz .LBB6_88
; %bb.73:                               ;   in Loop: Header=BB6_70 Depth=1
	v_add_co_u32 v10, vcc_lo, v8, 1
	v_add_co_ci_u32_e64 v11, null, 0, v9, vcc_lo
	s_waitcnt lgkmcnt(0)
	v_add_co_u32 v68, vcc_lo, v50, 8
	v_add_co_ci_u32_e64 v69, null, 0, v51, vcc_lo
	s_mov_b32 s23, exec_lo
	v_cmpx_lt_u64_e64 v[68:69], v[10:11]
	s_cbranch_execz .LBB6_85
; %bb.74:                               ;   in Loop: Header=BB6_70 Depth=1
	s_mov_b32 s24, 0
	s_mov_b32 s28, 0
	v_cmp_eq_u32_e32 vcc_lo, 0, v103
                                        ; implicit-def: $sgpr25
                                        ; implicit-def: $sgpr26
                                        ; implicit-def: $sgpr27
	s_branch .LBB6_77
.LBB6_75:                               ;   in Loop: Header=BB6_77 Depth=2
	s_or_b32 exec_lo, exec_lo, s43
	s_andn2_b32 s12, s27, exec_lo
	s_and_b32 s27, s41, exec_lo
	s_andn2_b32 s26, s26, exec_lo
	s_and_b32 s40, s40, exec_lo
	s_or_b32 s27, s12, s27
	s_or_b32 s26, s26, s40
.LBB6_76:                               ;   in Loop: Header=BB6_77 Depth=2
	s_or_b32 exec_lo, exec_lo, s29
	s_and_b32 s12, exec_lo, s26
	s_or_b32 s24, s12, s24
	s_andn2_b32 s12, s25, exec_lo
	s_and_b32 s25, s27, exec_lo
	s_or_b32 s25, s12, s25
	s_andn2_b32 exec_lo, exec_lo, s24
	s_cbranch_execz .LBB6_82
.LBB6_77:                               ;   Parent Loop BB6_70 Depth=1
                                        ; =>  This Inner Loop Header: Depth=2
	s_sleep 1
	s_waitcnt vmcnt(0) lgkmcnt(0)
	flat_load_dwordx2 v[50:51], v[34:35] glc dlc
	v_mov_b32_e32 v103, 1
	s_or_b32 s27, s27, exec_lo
	s_or_b32 s26, s26, exec_lo
                                        ; implicit-def: $vgpr9
	s_and_saveexec_b32 s29, vcc_lo
	s_cbranch_execz .LBB6_76
; %bb.78:                               ;   in Loop: Header=BB6_77 Depth=2
	s_add_i32 s28, s28, 1
	s_mov_b32 s40, -1
	s_cmpk_lg_i32 s28, 0x2710
	s_mov_b32 s41, -1
	s_cselect_b32 s42, -1, 0
	s_cmpk_eq_i32 s28, 0x2710
                                        ; implicit-def: $vgpr9
	s_cbranch_scc1 .LBB6_80
; %bb.79:                               ;   in Loop: Header=BB6_77 Depth=2
	v_mov_b32_e32 v103, 1
	s_and_saveexec_b32 s43, s42
	s_cbranch_execz .LBB6_75
	s_branch .LBB6_81
.LBB6_80:                               ;   in Loop: Header=BB6_77 Depth=2
	s_trap 2
	ds_read_b64 v[68:69], v0
	s_andn2_b32 s28, s42, exec_lo
	s_mov_b32 s41, 0
	s_waitcnt vmcnt(0) lgkmcnt(0)
	s_waitcnt_vscnt null, 0x0
	flat_load_dword v9, v[68:69] glc dlc
	s_waitcnt vmcnt(0) lgkmcnt(0)
	buffer_gl1_inv
	buffer_gl0_inv
	v_cmp_eq_u32_e64 s12, 0, v9
	s_and_b32 s12, s12, exec_lo
	s_or_b32 s42, s28, s12
	s_mov_b32 s28, 0
	v_mov_b32_e32 v103, 1
	s_and_saveexec_b32 s43, s42
	s_cbranch_execz .LBB6_75
.LBB6_81:                               ;   in Loop: Header=BB6_77 Depth=2
	s_waitcnt vmcnt(0) lgkmcnt(0)
	v_add_co_u32 v68, s12, v50, 8
	v_add_co_ci_u32_e64 v69, null, 0, v51, s12
	v_mov_b32_e32 v103, 0
	s_or_b32 s41, s41, exec_lo
	v_cmp_ge_u64_e64 s12, v[68:69], v[10:11]
	s_orn2_b32 s40, s12, exec_lo
	s_branch .LBB6_75
.LBB6_82:                               ;   in Loop: Header=BB6_70 Depth=1
	s_or_b32 exec_lo, exec_lo, s24
	s_xor_b32 s12, s25, -1
	s_and_saveexec_b32 s24, s12
	s_xor_b32 s12, exec_lo, s24
	s_cbranch_execz .LBB6_84
; %bb.83:                               ;   in Loop: Header=BB6_70 Depth=1
	v_mov_b32_e32 v103, 1
	s_waitcnt vmcnt(0) lgkmcnt(0)
	s_waitcnt_vscnt null, 0x0
	ds_write_b32 v0, v9
	s_trap 2
.LBB6_84:                               ;   in Loop: Header=BB6_70 Depth=1
	s_or_b32 exec_lo, exec_lo, s12
.LBB6_85:                               ;   in Loop: Header=BB6_70 Depth=1
	s_or_b32 exec_lo, exec_lo, s23
	s_and_saveexec_b32 s12, s8
	s_cbranch_execz .LBB6_87
; %bb.86:                               ;   in Loop: Header=BB6_70 Depth=1
	v_add_nc_u32_e32 v9, 7, v12
	v_ashrrev_i32_e32 v38, 31, v9
	v_lshrrev_b32_e32 v38, 29, v38
	v_add_nc_u32_e32 v9, v9, v38
	v_and_b32_e32 v38, 0x7ffffff8, v8
	v_lshrrev_b32_e32 v9, 3, v9
	v_cmp_eq_u64_e32 vcc_lo, 0x7ffffff8, v[38:39]
	v_and_b32_e32 v38, 7, v8
	v_mad_u64_u32 v[68:69], null, v38, 24, v[6:7]
	v_cndmask_b32_e64 v9, v9, s19, vcc_lo
	v_lshlrev_b32_e32 v8, 4, v9
	v_ashrrev_i32_e32 v9, 31, v8
	flat_store_dwordx2 v[68:69], v[8:9] offset:8
	s_waitcnt_vscnt null, 0x0
.LBB6_87:                               ;   in Loop: Header=BB6_70 Depth=1
	s_or_b32 exec_lo, exec_lo, s12
	v_mov_b32_e32 v8, v10
	v_mov_b32_e32 v9, v11
.LBB6_88:                               ;   in Loop: Header=BB6_70 Depth=1
	s_or_b32 exec_lo, exec_lo, s22
	s_and_saveexec_b32 s12, s9
	s_cbranch_execz .LBB6_107
; %bb.89:                               ;   in Loop: Header=BB6_70 Depth=1
	s_and_saveexec_b32 s22, s18
	s_xor_b32 s22, exec_lo, s22
	s_cbranch_execz .LBB6_104
; %bb.90:                               ;   in Loop: Header=BB6_70 Depth=1
	s_and_saveexec_b32 s23, s11
	s_cbranch_execz .LBB6_103
; %bb.91:                               ;   in Loop: Header=BB6_70 Depth=1
	s_mov_b32 s25, exec_lo
	s_mov_b32 s24, exec_lo
	v_mbcnt_lo_u32_b32 v10, s25, 0
	s_waitcnt vmcnt(0) lgkmcnt(0)
	s_waitcnt_vscnt null, 0x0
	buffer_gl1_inv
	buffer_gl0_inv
	v_cmpx_eq_u32_e32 0, v10
	s_cbranch_execz .LBB6_93
; %bb.92:                               ;   in Loop: Header=BB6_70 Depth=1
	s_bcnt1_i32_b32 s25, s25
	v_mov_b32_e32 v38, s25
	ds_add_u64 v0, v[38:39]
	s_trap 2
.LBB6_93:                               ;   in Loop: Header=BB6_70 Depth=1
	s_or_b32 exec_lo, exec_lo, s24
	s_trap 2
	ds_read_b64 v[10:11], v0
	s_waitcnt lgkmcnt(0)
	buffer_gl0_inv
	v_add_co_u32 v36, vcc_lo, v36, v83
	v_add_co_ci_u32_e64 v37, null, 0, v37, vcc_lo
	s_mov_b32 s24, exec_lo
	v_cmpx_lt_u64_e64 v[10:11], v[36:37]
	s_cbranch_execz .LBB6_102
; %bb.94:                               ;   in Loop: Header=BB6_70 Depth=1
	s_mov_b32 s25, 0
	s_mov_b32 s28, 0
                                        ; implicit-def: $sgpr26
                                        ; implicit-def: $sgpr27
	s_inst_prefetch 0x1
	s_branch .LBB6_96
	.p2align	6
.LBB6_95:                               ;   in Loop: Header=BB6_96 Depth=2
	s_or_b32 exec_lo, exec_lo, s40
	s_and_b32 s29, exec_lo, s41
	s_or_b32 s25, s29, s25
	s_andn2_b32 s26, s26, exec_lo
	s_and_b32 s29, s27, exec_lo
	s_or_b32 s26, s26, s29
	s_andn2_b32 exec_lo, exec_lo, s25
	s_cbranch_execz .LBB6_100
.LBB6_96:                               ;   Parent Loop BB6_70 Depth=1
                                        ; =>  This Inner Loop Header: Depth=2
	s_add_i32 s28, s28, 1
	s_cmpk_lg_i32 s28, 0x2710
	s_cselect_b32 s29, -1, 0
	s_and_b32 vcc_lo, exec_lo, s29
	s_cbranch_vccz .LBB6_98
; %bb.97:                               ;   in Loop: Header=BB6_96 Depth=2
	s_mov_b32 s41, -1
	s_or_b32 s27, s27, exec_lo
	s_and_saveexec_b32 s40, s29
	s_cbranch_execz .LBB6_95
	s_branch .LBB6_99
	.p2align	6
.LBB6_98:                               ;   in Loop: Header=BB6_96 Depth=2
	s_trap 2
	ds_read_b64 v[10:11], v0
	s_andn2_b32 s29, s29, exec_lo
	s_mov_b32 s28, 0
	s_waitcnt lgkmcnt(0)
	flat_load_dword v10, v[10:11] glc dlc
	s_waitcnt vmcnt(0) lgkmcnt(0)
	buffer_gl1_inv
	buffer_gl0_inv
	v_cmp_eq_u32_e32 vcc_lo, 0, v10
	s_and_b32 s40, vcc_lo, exec_lo
	s_or_b32 s29, s29, s40
	s_mov_b32 s41, -1
	s_or_b32 s27, s27, exec_lo
	s_and_saveexec_b32 s40, s29
	s_cbranch_execz .LBB6_95
.LBB6_99:                               ;   in Loop: Header=BB6_96 Depth=2
	s_sleep 1
	s_trap 2
	ds_read_b64 v[10:11], v0
	s_waitcnt lgkmcnt(0)
	buffer_gl0_inv
	s_andn2_b32 s27, s27, exec_lo
	v_cmp_ge_u64_e32 vcc_lo, v[10:11], v[36:37]
	s_orn2_b32 s41, vcc_lo, exec_lo
	s_branch .LBB6_95
.LBB6_100:                              ;   in Loop: Header=BB6_70 Depth=1
	s_inst_prefetch 0x2
	s_or_b32 exec_lo, exec_lo, s25
	s_and_saveexec_b32 s25, s26
	s_xor_b32 s25, exec_lo, s25
	s_cbranch_execz .LBB6_102
; %bb.101:                              ;   in Loop: Header=BB6_70 Depth=1
	ds_write_b32 v0, v102
	s_trap 2
.LBB6_102:                              ;   in Loop: Header=BB6_70 Depth=1
	s_or_b32 exec_lo, exec_lo, s24
	;;#ASMSTART
	s_wakeup
	;;#ASMEND
.LBB6_103:                              ;   in Loop: Header=BB6_70 Depth=1
	s_or_b32 exec_lo, exec_lo, s23
.LBB6_104:                              ;   in Loop: Header=BB6_70 Depth=1
	s_andn2_saveexec_b32 s22, s22
	s_cbranch_execz .LBB6_106
; %bb.105:                              ;   in Loop: Header=BB6_70 Depth=1
	s_waitcnt vmcnt(0) lgkmcnt(0)
	s_waitcnt_vscnt null, 0x0
	buffer_gl1_inv
	buffer_gl0_inv
	s_barrier
.LBB6_106:                              ;   in Loop: Header=BB6_70 Depth=1
	s_or_b32 exec_lo, exec_lo, s22
.LBB6_107:                              ;   in Loop: Header=BB6_70 Depth=1
	s_or_b32 exec_lo, exec_lo, s12
	v_sub_nc_u32_e32 v38, v12, v84
	v_mov_b32_e32 v66, v0
	s_mov_b32 s22, exec_lo
	v_cmpx_lt_i32_e32 0, v38
	s_cbranch_execnz .LBB6_134
; %bb.108:                              ;   in Loop: Header=BB6_70 Depth=1
	s_or_b32 exec_lo, exec_lo, s22
	s_and_saveexec_b32 s12, s9
	s_cbranch_execnz .LBB6_199
.LBB6_109:                              ;   in Loop: Header=BB6_70 Depth=1
	s_or_b32 exec_lo, exec_lo, s12
	s_and_saveexec_b32 s12, s10
	s_cbranch_execz .LBB6_111
.LBB6_110:                              ;   in Loop: Header=BB6_70 Depth=1
	v_add_co_u32 v28, vcc_lo, v28, 1
	v_add_co_ci_u32_e64 v29, null, 0, v29, vcc_lo
	s_waitcnt vmcnt(0) lgkmcnt(0)
	s_waitcnt_vscnt null, 0x0
	flat_store_dwordx2 v[32:33], v[28:29]
.LBB6_111:                              ;   in Loop: Header=BB6_70 Depth=1
	s_or_b32 exec_lo, exec_lo, s12
	v_and_b32_e32 v38, 0x7ffffff8, v26
	v_cmp_gt_i32_e64 s12, s19, v66
	v_cmp_eq_u64_e32 vcc_lo, 0x7ffffff8, v[38:39]
	s_and_b32 s12, vcc_lo, s12
	s_and_saveexec_b32 s22, s12
	s_cbranch_execz .LBB6_114
; %bb.112:                              ;   in Loop: Header=BB6_70 Depth=1
	v_and_b32_e32 v10, 7, v26
	v_ashrrev_i32_e32 v67, 31, v66
	s_mov_b32 s23, 0
	v_mul_lo_u32 v10, v10, s19
	v_lshlrev_b64 v[12:13], 4, v[66:67]
	v_ashrrev_i32_e32 v11, 31, v10
	v_lshlrev_b64 v[67:68], 4, v[10:11]
	v_add_nc_u32_e32 v11, 1, v26
	v_mov_b32_e32 v10, v39
	v_add_co_u32 v12, vcc_lo, v12, v67
	v_add_co_ci_u32_e64 v13, null, v13, v68, vcc_lo
	v_add_co_u32 v67, vcc_lo, v24, v12
	v_add_co_ci_u32_e64 v68, null, v25, v13, vcc_lo
.LBB6_113:                              ;   Parent Loop BB6_70 Depth=1
                                        ; =>  This Inner Loop Header: Depth=2
	v_mov_b32_e32 v12, v10
	v_add_nc_u32_e32 v66, v66, v2
	v_mov_b32_e32 v13, v11
	v_cmp_le_i32_e32 vcc_lo, s19, v66
	global_store_dwordx4 v[67:68], v[10:13], off
	v_add_co_u32 v67, s12, v67, v52
	v_add_co_ci_u32_e64 v68, null, v68, v53, s12
	s_or_b32 s23, vcc_lo, s23
	s_andn2_b32 exec_lo, exec_lo, s23
	s_cbranch_execnz .LBB6_113
.LBB6_114:                              ;   in Loop: Header=BB6_70 Depth=1
	s_or_b32 exec_lo, exec_lo, s22
	v_add_co_u32 v22, vcc_lo, v22, 1
	v_add_co_ci_u32_e64 v23, null, 0, v23, vcc_lo
	v_add_co_u32 v26, vcc_lo, v26, 1
	v_add_co_ci_u32_e64 v27, null, 0, v27, vcc_lo
                                        ; implicit-def: $vgpr12
                                        ; implicit-def: $vgpr13
                                        ; implicit-def: $vgpr67
.LBB6_115:                              ;   in Loop: Header=BB6_70 Depth=1
	s_andn2_saveexec_b32 s21, s21
	s_cbranch_execz .LBB6_133
; %bb.116:                              ;   in Loop: Header=BB6_70 Depth=1
	v_sub_nc_u32_e32 v38, v12, v84
	s_mov_b32 s22, exec_lo
	v_cmpx_lt_i32_e32 0, v38
	s_cbranch_execnz .LBB6_166
; %bb.117:                              ;   in Loop: Header=BB6_70 Depth=1
	s_or_b32 exec_lo, exec_lo, s22
	s_and_saveexec_b32 s12, s9
	s_cbranch_execnz .LBB6_211
.LBB6_118:                              ;   in Loop: Header=BB6_70 Depth=1
	s_or_b32 exec_lo, exec_lo, s12
	s_and_saveexec_b32 s12, s10
	s_cbranch_execz .LBB6_120
.LBB6_119:                              ;   in Loop: Header=BB6_70 Depth=1
	v_add_co_u32 v28, vcc_lo, v28, 1
	v_add_co_ci_u32_e64 v29, null, 0, v29, vcc_lo
	s_waitcnt vmcnt(0) lgkmcnt(0)
	s_waitcnt_vscnt null, 0x0
	flat_store_dwordx2 v[32:33], v[28:29]
.LBB6_120:                              ;   in Loop: Header=BB6_70 Depth=1
	s_or_b32 exec_lo, exec_lo, s12
	v_add_co_u32 v22, vcc_lo, v22, 1
	v_add_co_ci_u32_e64 v23, null, 0, v23, vcc_lo
	s_or_b32 exec_lo, exec_lo, s21
                                        ; implicit-def: $vgpr12
.LBB6_121:                              ;   in Loop: Header=BB6_70 Depth=1
	s_andn2_saveexec_b32 s20, s20
	s_cbranch_execz .LBB6_69
.LBB6_122:                              ;   in Loop: Header=BB6_70 Depth=1
	s_waitcnt vmcnt(0)
	v_add_nc_u32_e32 v10, 7, v12
	v_ashrrev_i32_e32 v11, 31, v10
	v_lshrrev_b32_e32 v11, 29, v11
	v_add_nc_u32_e32 v10, v10, v11
	v_ashrrev_i32_e32 v13, 3, v10
	s_and_saveexec_b32 s12, s14
	s_xor_b32 s21, exec_lo, s12
	s_cbranch_execz .LBB6_291
; %bb.123:                              ;   in Loop: Header=BB6_70 Depth=1
	s_and_saveexec_b32 s22, s7
	s_cbranch_execz .LBB6_228
; %bb.124:                              ;   in Loop: Header=BB6_70 Depth=1
	v_add_co_u32 v10, vcc_lo, v8, 1
	v_add_co_ci_u32_e64 v11, null, 0, v9, vcc_lo
	s_waitcnt lgkmcnt(0)
	v_add_co_u32 v66, vcc_lo, v50, 8
	v_add_co_ci_u32_e64 v67, null, 0, v51, vcc_lo
	s_mov_b32 s23, exec_lo
	v_cmpx_lt_u64_e64 v[66:67], v[10:11]
	s_cbranch_execz .LBB6_225
; %bb.125:                              ;   in Loop: Header=BB6_70 Depth=1
	s_mov_b32 s24, 0
	s_mov_b32 s28, 0
	v_cmp_eq_u32_e32 vcc_lo, 0, v103
                                        ; implicit-def: $sgpr25
                                        ; implicit-def: $sgpr26
                                        ; implicit-def: $sgpr27
	s_branch .LBB6_128
.LBB6_126:                              ;   in Loop: Header=BB6_128 Depth=2
	s_or_b32 exec_lo, exec_lo, s43
	s_andn2_b32 s12, s27, exec_lo
	s_and_b32 s27, s41, exec_lo
	s_andn2_b32 s26, s26, exec_lo
	s_and_b32 s40, s40, exec_lo
	s_or_b32 s27, s12, s27
	s_or_b32 s26, s26, s40
.LBB6_127:                              ;   in Loop: Header=BB6_128 Depth=2
	s_or_b32 exec_lo, exec_lo, s29
	s_and_b32 s12, exec_lo, s26
	s_or_b32 s24, s12, s24
	s_andn2_b32 s12, s25, exec_lo
	s_and_b32 s25, s27, exec_lo
	s_or_b32 s25, s12, s25
	s_andn2_b32 exec_lo, exec_lo, s24
	s_cbranch_execz .LBB6_222
.LBB6_128:                              ;   Parent Loop BB6_70 Depth=1
                                        ; =>  This Inner Loop Header: Depth=2
	s_sleep 1
	s_waitcnt vmcnt(0) lgkmcnt(0)
	flat_load_dwordx2 v[50:51], v[34:35] glc dlc
	v_mov_b32_e32 v103, 1
	s_or_b32 s27, s27, exec_lo
	s_or_b32 s26, s26, exec_lo
                                        ; implicit-def: $vgpr9
	s_and_saveexec_b32 s29, vcc_lo
	s_cbranch_execz .LBB6_127
; %bb.129:                              ;   in Loop: Header=BB6_128 Depth=2
	s_add_i32 s28, s28, 1
	s_mov_b32 s40, -1
	s_cmpk_lg_i32 s28, 0x2710
	s_mov_b32 s41, -1
	s_cselect_b32 s42, -1, 0
	s_cmpk_eq_i32 s28, 0x2710
                                        ; implicit-def: $vgpr9
	s_cbranch_scc1 .LBB6_131
; %bb.130:                              ;   in Loop: Header=BB6_128 Depth=2
	v_mov_b32_e32 v103, 1
	s_and_saveexec_b32 s43, s42
	s_cbranch_execz .LBB6_126
	s_branch .LBB6_132
.LBB6_131:                              ;   in Loop: Header=BB6_128 Depth=2
	s_trap 2
	ds_read_b64 v[66:67], v0
	s_andn2_b32 s28, s42, exec_lo
	s_mov_b32 s41, 0
	s_waitcnt vmcnt(0) lgkmcnt(0)
	s_waitcnt_vscnt null, 0x0
	flat_load_dword v9, v[66:67] glc dlc
	s_waitcnt vmcnt(0) lgkmcnt(0)
	buffer_gl1_inv
	buffer_gl0_inv
	v_cmp_eq_u32_e64 s12, 0, v9
	s_and_b32 s12, s12, exec_lo
	s_or_b32 s42, s28, s12
	s_mov_b32 s28, 0
	v_mov_b32_e32 v103, 1
	s_and_saveexec_b32 s43, s42
	s_cbranch_execz .LBB6_126
.LBB6_132:                              ;   in Loop: Header=BB6_128 Depth=2
	s_waitcnt vmcnt(0) lgkmcnt(0)
	v_add_co_u32 v66, s12, v50, 8
	v_add_co_ci_u32_e64 v67, null, 0, v51, s12
	v_mov_b32_e32 v103, 0
	s_or_b32 s41, s41, exec_lo
	v_cmp_ge_u64_e64 s12, v[66:67], v[10:11]
	s_orn2_b32 s40, s12, exec_lo
	s_branch .LBB6_126
.LBB6_133:                              ;   in Loop: Header=BB6_70 Depth=1
	s_or_b32 exec_lo, exec_lo, s21
                                        ; implicit-def: $vgpr12
	s_andn2_saveexec_b32 s20, s20
	s_cbranch_execz .LBB6_69
	s_branch .LBB6_122
.LBB6_134:                              ;   in Loop: Header=BB6_70 Depth=1
	v_and_b32_e32 v10, 7, v22
	v_and_b32_e32 v11, 7, v26
	v_add_co_u32 v68, vcc_lo, v86, v13
	v_add_co_ci_u32_e64 v69, null, v87, v67, vcc_lo
	v_mul_lo_u32 v10, v10, s19
	v_mul_lo_u32 v70, v11, s19
	v_add_nc_u32_e32 v112, 1, v22
	v_add_nc_u32_e32 v113, 1, v26
	v_mov_b32_e32 v66, v0
	s_mov_b32 s23, 0
	v_ashrrev_i32_e32 v11, 31, v10
	v_ashrrev_i32_e32 v71, 31, v70
	v_lshlrev_b64 v[10:11], 4, v[10:11]
	v_lshlrev_b64 v[12:13], 4, v[70:71]
	v_add_co_u32 v114, vcc_lo, v20, v10
	v_add_co_ci_u32_e64 v115, null, v21, v11, vcc_lo
	v_add_co_u32 v116, vcc_lo, v24, v12
	v_add_co_ci_u32_e64 v117, null, v25, v13, vcc_lo
	s_branch .LBB6_136
.LBB6_135:                              ;   in Loop: Header=BB6_136 Depth=2
	v_sub_nc_u32_e32 v38, v38, v85
	v_add_co_u32 v68, s12, v68, v85
	v_add_co_ci_u32_e64 v69, null, 0, v69, s12
	v_cmp_gt_i32_e32 vcc_lo, 1, v38
	v_add_nc_u32_e32 v66, v66, v2
	s_or_b32 s23, vcc_lo, s23
	s_andn2_b32 exec_lo, exec_lo, s23
	s_cbranch_execz .LBB6_198
.LBB6_136:                              ;   Parent Loop BB6_70 Depth=1
                                        ; =>  This Loop Header: Depth=2
                                        ;       Child Loop BB6_140 Depth 3
	v_ashrrev_i32_e32 v67, 31, v66
	v_lshlrev_b64 v[70:71], 4, v[66:67]
	v_add_co_u32 v80, vcc_lo, v114, v70
	v_add_co_ci_u32_e64 v81, null, v115, v71, vcc_lo
	v_cmp_eq_u32_e32 vcc_lo, 0, v103
	v_mov_b32_e32 v103, 1
	global_load_dwordx4 v[10:13], v[80:81], off slc
	s_and_saveexec_b32 s24, vcc_lo
	s_cbranch_execz .LBB6_148
; %bb.137:                              ;   in Loop: Header=BB6_136 Depth=2
	s_waitcnt vmcnt(0)
	v_cmp_ne_u32_e32 vcc_lo, v112, v11
	v_cmp_ne_u32_e64 s12, v112, v13
	v_mov_b32_e32 v103, 0
	s_or_b32 s12, vcc_lo, s12
	s_and_saveexec_b32 s25, s12
	s_cbranch_execz .LBB6_147
; %bb.138:                              ;   in Loop: Header=BB6_136 Depth=2
	s_mov_b32 s29, 1
	s_mov_b32 s27, 0
                                        ; implicit-def: $sgpr26
                                        ; implicit-def: $sgpr28
	s_inst_prefetch 0x1
	s_branch .LBB6_140
	.p2align	6
.LBB6_139:                              ;   in Loop: Header=BB6_140 Depth=3
	s_or_b32 exec_lo, exec_lo, s41
	s_and_b32 s12, exec_lo, s12
	s_or_b32 s27, s12, s27
	s_andn2_b32 s12, s26, exec_lo
	s_and_b32 s26, s28, exec_lo
	s_or_b32 s26, s12, s26
	s_andn2_b32 exec_lo, exec_lo, s27
	s_cbranch_execz .LBB6_144
.LBB6_140:                              ;   Parent Loop BB6_70 Depth=1
                                        ;     Parent Loop BB6_136 Depth=2
                                        ; =>    This Inner Loop Header: Depth=3
	global_load_dwordx4 v[10:13], v[80:81], off slc
	s_add_i32 s29, s29, 1
	s_mov_b32 s12, -1
	s_cmpk_lg_i32 s29, 0x2710
	s_mov_b32 s40, -1
                                        ; implicit-def: $vgpr67
	s_cbranch_scc0 .LBB6_142
; %bb.141:                              ;   in Loop: Header=BB6_140 Depth=3
	s_or_b32 s28, s28, exec_lo
	s_and_saveexec_b32 s41, s40
	s_cbranch_execz .LBB6_139
	s_branch .LBB6_143
	.p2align	6
.LBB6_142:                              ;   in Loop: Header=BB6_140 Depth=3
	s_trap 2
	ds_read_b64 v[118:119], v0
	s_mov_b32 s29, 0
	s_waitcnt vmcnt(0) lgkmcnt(0)
	s_waitcnt_vscnt null, 0x0
	flat_load_dword v67, v[118:119] glc dlc
	s_waitcnt vmcnt(0) lgkmcnt(0)
	buffer_gl1_inv
	buffer_gl0_inv
	v_cmp_eq_u32_e32 vcc_lo, 0, v67
	s_orn2_b32 s40, vcc_lo, exec_lo
	s_or_b32 s28, s28, exec_lo
	s_and_saveexec_b32 s41, s40
	s_cbranch_execz .LBB6_139
.LBB6_143:                              ;   in Loop: Header=BB6_140 Depth=3
	s_waitcnt vmcnt(0)
	v_cmp_eq_u32_e32 vcc_lo, v112, v11
	v_cmp_eq_u32_e64 s12, v112, v13
	s_andn2_b32 s28, s28, exec_lo
	s_and_b32 s12, vcc_lo, s12
	s_orn2_b32 s12, s12, exec_lo
	s_branch .LBB6_139
.LBB6_144:                              ;   in Loop: Header=BB6_136 Depth=2
	s_inst_prefetch 0x2
	s_or_b32 exec_lo, exec_lo, s27
	v_mov_b32_e32 v103, 0
	s_and_saveexec_b32 s12, s26
	s_xor_b32 s12, exec_lo, s12
	s_cbranch_execz .LBB6_146
; %bb.145:                              ;   in Loop: Header=BB6_136 Depth=2
	v_mov_b32_e32 v103, 1
	s_waitcnt vmcnt(0) lgkmcnt(0)
	s_waitcnt_vscnt null, 0x0
	ds_write_b32 v0, v67
	s_trap 2
.LBB6_146:                              ;   in Loop: Header=BB6_136 Depth=2
	s_or_b32 exec_lo, exec_lo, s12
.LBB6_147:                              ;   in Loop: Header=BB6_136 Depth=2
	s_or_b32 exec_lo, exec_lo, s25
.LBB6_148:                              ;   in Loop: Header=BB6_136 Depth=2
	s_or_b32 exec_lo, exec_lo, s24
	v_add_co_u32 v70, vcc_lo, v116, v70
	v_add_co_ci_u32_e64 v71, null, v117, v71, vcc_lo
	v_cmp_lt_u32_e32 vcc_lo, 7, v38
	s_waitcnt vmcnt(0)
	v_mov_b32_e32 v11, v113
	v_mov_b32_e32 v13, v113
	s_mov_b32 s12, -1
	s_cmp_lg_u32 vcc_lo, exec_lo
	global_store_dwordx4 v[70:71], v[10:13], off
	s_cbranch_scc0 .LBB6_164
; %bb.149:                              ;   in Loop: Header=BB6_136 Depth=2
	s_mov_b32 s24, exec_lo
	flat_store_byte v[68:69], v10
	v_cmpx_ne_u32_e32 1, v38
	s_cbranch_execz .LBB6_151
; %bb.150:                              ;   in Loop: Header=BB6_136 Depth=2
	v_lshrrev_b32_e32 v11, 8, v10
	flat_store_byte v[68:69], v11 offset:1
.LBB6_151:                              ;   in Loop: Header=BB6_136 Depth=2
	s_or_b32 exec_lo, exec_lo, s24
	s_mov_b32 s24, exec_lo
	v_cmpx_lt_u32_e32 2, v38
	s_cbranch_execz .LBB6_153
; %bb.152:                              ;   in Loop: Header=BB6_136 Depth=2
	flat_store_byte_d16_hi v[68:69], v10 offset:2
.LBB6_153:                              ;   in Loop: Header=BB6_136 Depth=2
	s_or_b32 exec_lo, exec_lo, s24
	s_mov_b32 s24, exec_lo
	v_cmpx_lt_u32_e32 3, v38
	s_cbranch_execz .LBB6_155
; %bb.154:                              ;   in Loop: Header=BB6_136 Depth=2
	v_lshrrev_b32_e32 v11, 24, v10
	flat_store_byte v[68:69], v11 offset:3
.LBB6_155:                              ;   in Loop: Header=BB6_136 Depth=2
	s_or_b32 exec_lo, exec_lo, s24
	s_mov_b32 s24, exec_lo
	v_cmpx_lt_u32_e32 4, v38
	s_cbranch_execz .LBB6_157
; %bb.156:                              ;   in Loop: Header=BB6_136 Depth=2
	flat_store_byte v[68:69], v12 offset:4
.LBB6_157:                              ;   in Loop: Header=BB6_136 Depth=2
	s_or_b32 exec_lo, exec_lo, s24
	s_mov_b32 s24, exec_lo
	v_cmpx_lt_u32_e32 5, v38
	s_cbranch_execz .LBB6_159
; %bb.158:                              ;   in Loop: Header=BB6_136 Depth=2
	v_lshrrev_b32_e32 v11, 8, v12
	flat_store_byte v[68:69], v11 offset:5
.LBB6_159:                              ;   in Loop: Header=BB6_136 Depth=2
	s_or_b32 exec_lo, exec_lo, s24
	s_mov_b32 s24, exec_lo
	v_cmpx_lt_u32_e32 6, v38
	s_cbranch_execz .LBB6_161
; %bb.160:                              ;   in Loop: Header=BB6_136 Depth=2
	flat_store_byte_d16_hi v[68:69], v12 offset:6
.LBB6_161:                              ;   in Loop: Header=BB6_136 Depth=2
	s_or_b32 exec_lo, exec_lo, s24
	s_and_saveexec_b32 s12, vcc_lo
	s_cbranch_execz .LBB6_163
; %bb.162:                              ;   in Loop: Header=BB6_136 Depth=2
	v_lshrrev_b32_e32 v11, 24, v12
	flat_store_byte v[68:69], v11 offset:7
.LBB6_163:                              ;   in Loop: Header=BB6_136 Depth=2
	s_or_b32 exec_lo, exec_lo, s12
	s_mov_b32 s12, 0
.LBB6_164:                              ;   in Loop: Header=BB6_136 Depth=2
	s_and_b32 vcc_lo, exec_lo, s12
	s_cbranch_vccz .LBB6_135
; %bb.165:                              ;   in Loop: Header=BB6_136 Depth=2
	v_mov_b32_e32 v11, v12
	global_store_dwordx2 v[68:69], v[10:11], off
	s_branch .LBB6_135
.LBB6_166:                              ;   in Loop: Header=BB6_70 Depth=1
	v_and_b32_e32 v10, 7, v22
	v_add_co_u32 v66, vcc_lo, v86, v13
	v_add_co_ci_u32_e64 v67, null, v87, v67, vcc_lo
	v_mul_lo_u32 v10, v10, s19
	v_add_nc_u32_e32 v71, 1, v22
	v_mov_b32_e32 v68, v0
	s_mov_b32 s23, 0
	v_ashrrev_i32_e32 v11, 31, v10
	v_lshlrev_b64 v[10:11], 4, v[10:11]
	v_add_co_u32 v80, vcc_lo, v20, v10
	v_add_co_ci_u32_e64 v81, null, v21, v11, vcc_lo
	s_branch .LBB6_168
.LBB6_167:                              ;   in Loop: Header=BB6_168 Depth=2
	v_sub_nc_u32_e32 v38, v38, v85
	v_add_co_u32 v66, s12, v66, v85
	v_add_co_ci_u32_e64 v67, null, 0, v67, s12
	v_cmp_gt_i32_e32 vcc_lo, 1, v38
	v_add_nc_u32_e32 v68, v68, v2
	s_or_b32 s23, vcc_lo, s23
	s_andn2_b32 exec_lo, exec_lo, s23
	s_cbranch_execz .LBB6_210
.LBB6_168:                              ;   Parent Loop BB6_70 Depth=1
                                        ; =>  This Loop Header: Depth=2
                                        ;       Child Loop BB6_172 Depth 3
	v_ashrrev_i32_e32 v69, 31, v68
	s_waitcnt vmcnt(0)
	v_lshlrev_b64 v[10:11], 4, v[68:69]
	v_add_co_u32 v69, vcc_lo, v80, v10
	v_add_co_ci_u32_e64 v70, null, v81, v11, vcc_lo
	v_cmp_eq_u32_e32 vcc_lo, 0, v103
	v_mov_b32_e32 v103, 1
	global_load_dwordx4 v[10:13], v[69:70], off slc
	s_and_saveexec_b32 s24, vcc_lo
	s_cbranch_execz .LBB6_180
; %bb.169:                              ;   in Loop: Header=BB6_168 Depth=2
	s_waitcnt vmcnt(0)
	v_cmp_ne_u32_e32 vcc_lo, v71, v11
	v_cmp_ne_u32_e64 s12, v71, v13
	v_mov_b32_e32 v103, 0
	s_or_b32 s12, vcc_lo, s12
	s_and_saveexec_b32 s25, s12
	s_cbranch_execz .LBB6_179
; %bb.170:                              ;   in Loop: Header=BB6_168 Depth=2
	s_mov_b32 s29, 1
	s_mov_b32 s27, 0
                                        ; implicit-def: $sgpr26
                                        ; implicit-def: $sgpr28
	s_inst_prefetch 0x1
	s_branch .LBB6_172
	.p2align	6
.LBB6_171:                              ;   in Loop: Header=BB6_172 Depth=3
	s_or_b32 exec_lo, exec_lo, s41
	s_and_b32 s12, exec_lo, s12
	s_or_b32 s27, s12, s27
	s_andn2_b32 s12, s26, exec_lo
	s_and_b32 s26, s28, exec_lo
	s_or_b32 s26, s12, s26
	s_andn2_b32 exec_lo, exec_lo, s27
	s_cbranch_execz .LBB6_176
.LBB6_172:                              ;   Parent Loop BB6_70 Depth=1
                                        ;     Parent Loop BB6_168 Depth=2
                                        ; =>    This Inner Loop Header: Depth=3
	global_load_dwordx4 v[10:13], v[69:70], off slc
	s_add_i32 s29, s29, 1
	s_mov_b32 s12, -1
	s_cmpk_lg_i32 s29, 0x2710
	s_mov_b32 s40, -1
                                        ; implicit-def: $vgpr112
	s_cbranch_scc0 .LBB6_174
; %bb.173:                              ;   in Loop: Header=BB6_172 Depth=3
	s_or_b32 s28, s28, exec_lo
	s_and_saveexec_b32 s41, s40
	s_cbranch_execz .LBB6_171
	s_branch .LBB6_175
	.p2align	6
.LBB6_174:                              ;   in Loop: Header=BB6_172 Depth=3
	s_trap 2
	ds_read_b64 v[112:113], v0
	s_mov_b32 s29, 0
	s_waitcnt vmcnt(0) lgkmcnt(0)
	s_waitcnt_vscnt null, 0x0
	flat_load_dword v112, v[112:113] glc dlc
	s_waitcnt vmcnt(0) lgkmcnt(0)
	buffer_gl1_inv
	buffer_gl0_inv
	v_cmp_eq_u32_e32 vcc_lo, 0, v112
	s_orn2_b32 s40, vcc_lo, exec_lo
	s_or_b32 s28, s28, exec_lo
	s_and_saveexec_b32 s41, s40
	s_cbranch_execz .LBB6_171
.LBB6_175:                              ;   in Loop: Header=BB6_172 Depth=3
	s_waitcnt vmcnt(0)
	v_cmp_eq_u32_e32 vcc_lo, v71, v11
	v_cmp_eq_u32_e64 s12, v71, v13
	s_andn2_b32 s28, s28, exec_lo
	s_and_b32 s12, vcc_lo, s12
	s_orn2_b32 s12, s12, exec_lo
	s_branch .LBB6_171
.LBB6_176:                              ;   in Loop: Header=BB6_168 Depth=2
	s_inst_prefetch 0x2
	s_or_b32 exec_lo, exec_lo, s27
	v_mov_b32_e32 v103, 0
	s_and_saveexec_b32 s12, s26
	s_xor_b32 s12, exec_lo, s12
	s_cbranch_execz .LBB6_178
; %bb.177:                              ;   in Loop: Header=BB6_168 Depth=2
	v_mov_b32_e32 v103, 1
	s_waitcnt vmcnt(0) lgkmcnt(0)
	s_waitcnt_vscnt null, 0x0
	ds_write_b32 v0, v112
	s_trap 2
.LBB6_178:                              ;   in Loop: Header=BB6_168 Depth=2
	s_or_b32 exec_lo, exec_lo, s12
.LBB6_179:                              ;   in Loop: Header=BB6_168 Depth=2
	s_or_b32 exec_lo, exec_lo, s25
.LBB6_180:                              ;   in Loop: Header=BB6_168 Depth=2
	s_or_b32 exec_lo, exec_lo, s24
	v_cmp_lt_u32_e32 vcc_lo, 7, v38
	s_mov_b32 s12, -1
	s_cmp_lg_u32 vcc_lo, exec_lo
	s_cbranch_scc0 .LBB6_196
; %bb.181:                              ;   in Loop: Header=BB6_168 Depth=2
	s_mov_b32 s24, exec_lo
	s_waitcnt vmcnt(0)
	flat_store_byte v[66:67], v10
	v_cmpx_ne_u32_e32 1, v38
	s_cbranch_execz .LBB6_183
; %bb.182:                              ;   in Loop: Header=BB6_168 Depth=2
	v_lshrrev_b32_e32 v11, 8, v10
	flat_store_byte v[66:67], v11 offset:1
.LBB6_183:                              ;   in Loop: Header=BB6_168 Depth=2
	s_or_b32 exec_lo, exec_lo, s24
	s_mov_b32 s24, exec_lo
	v_cmpx_lt_u32_e32 2, v38
	s_cbranch_execz .LBB6_185
; %bb.184:                              ;   in Loop: Header=BB6_168 Depth=2
	flat_store_byte_d16_hi v[66:67], v10 offset:2
.LBB6_185:                              ;   in Loop: Header=BB6_168 Depth=2
	s_or_b32 exec_lo, exec_lo, s24
	s_mov_b32 s24, exec_lo
	v_cmpx_lt_u32_e32 3, v38
	s_cbranch_execz .LBB6_187
; %bb.186:                              ;   in Loop: Header=BB6_168 Depth=2
	v_lshrrev_b32_e32 v11, 24, v10
	flat_store_byte v[66:67], v11 offset:3
.LBB6_187:                              ;   in Loop: Header=BB6_168 Depth=2
	s_or_b32 exec_lo, exec_lo, s24
	s_mov_b32 s24, exec_lo
	v_cmpx_lt_u32_e32 4, v38
	s_cbranch_execz .LBB6_189
; %bb.188:                              ;   in Loop: Header=BB6_168 Depth=2
	flat_store_byte v[66:67], v12 offset:4
.LBB6_189:                              ;   in Loop: Header=BB6_168 Depth=2
	s_or_b32 exec_lo, exec_lo, s24
	s_mov_b32 s24, exec_lo
	v_cmpx_lt_u32_e32 5, v38
	s_cbranch_execz .LBB6_191
; %bb.190:                              ;   in Loop: Header=BB6_168 Depth=2
	v_lshrrev_b32_e32 v11, 8, v12
	flat_store_byte v[66:67], v11 offset:5
.LBB6_191:                              ;   in Loop: Header=BB6_168 Depth=2
	s_or_b32 exec_lo, exec_lo, s24
	s_mov_b32 s24, exec_lo
	v_cmpx_lt_u32_e32 6, v38
	s_cbranch_execz .LBB6_193
; %bb.192:                              ;   in Loop: Header=BB6_168 Depth=2
	flat_store_byte_d16_hi v[66:67], v12 offset:6
.LBB6_193:                              ;   in Loop: Header=BB6_168 Depth=2
	s_or_b32 exec_lo, exec_lo, s24
	s_and_saveexec_b32 s12, vcc_lo
	s_cbranch_execz .LBB6_195
; %bb.194:                              ;   in Loop: Header=BB6_168 Depth=2
	v_lshrrev_b32_e32 v11, 24, v12
	flat_store_byte v[66:67], v11 offset:7
.LBB6_195:                              ;   in Loop: Header=BB6_168 Depth=2
	s_or_b32 exec_lo, exec_lo, s12
	s_mov_b32 s12, 0
.LBB6_196:                              ;   in Loop: Header=BB6_168 Depth=2
	s_and_b32 vcc_lo, exec_lo, s12
	s_cbranch_vccz .LBB6_167
; %bb.197:                              ;   in Loop: Header=BB6_168 Depth=2
	s_waitcnt vmcnt(0)
	v_mov_b32_e32 v11, v12
	global_store_dwordx2 v[66:67], v[10:11], off
	s_branch .LBB6_167
.LBB6_198:                              ;   in Loop: Header=BB6_70 Depth=1
	s_or_b32 exec_lo, exec_lo, s23
	s_or_b32 exec_lo, exec_lo, s22
	s_and_saveexec_b32 s12, s9
	s_cbranch_execz .LBB6_109
.LBB6_199:                              ;   in Loop: Header=BB6_70 Depth=1
	s_and_saveexec_b32 s22, s18
	s_xor_b32 s22, exec_lo, s22
	s_cbranch_execz .LBB6_244
; %bb.200:                              ;   in Loop: Header=BB6_70 Depth=1
	s_and_saveexec_b32 s23, s11
	s_cbranch_execz .LBB6_243
; %bb.201:                              ;   in Loop: Header=BB6_70 Depth=1
	s_mov_b32 s25, exec_lo
	s_mov_b32 s24, exec_lo
	v_mbcnt_lo_u32_b32 v10, s25, 0
	s_waitcnt vmcnt(0) lgkmcnt(0)
	s_waitcnt_vscnt null, 0x0
	buffer_gl1_inv
	buffer_gl0_inv
	v_cmpx_eq_u32_e32 0, v10
	s_cbranch_execz .LBB6_203
; %bb.202:                              ;   in Loop: Header=BB6_70 Depth=1
	s_bcnt1_i32_b32 s25, s25
	v_mov_b32_e32 v38, s25
	ds_add_u64 v0, v[38:39]
	s_trap 2
.LBB6_203:                              ;   in Loop: Header=BB6_70 Depth=1
	s_or_b32 exec_lo, exec_lo, s24
	s_trap 2
	ds_read_b64 v[10:11], v0
	s_waitcnt lgkmcnt(0)
	buffer_gl0_inv
	v_add_co_u32 v36, vcc_lo, v36, v83
	v_add_co_ci_u32_e64 v37, null, 0, v37, vcc_lo
	s_mov_b32 s24, exec_lo
	v_cmpx_lt_u64_e64 v[10:11], v[36:37]
	s_cbranch_execz .LBB6_242
; %bb.204:                              ;   in Loop: Header=BB6_70 Depth=1
	s_mov_b32 s25, 0
	s_mov_b32 s28, 0
                                        ; implicit-def: $sgpr26
                                        ; implicit-def: $sgpr27
	s_inst_prefetch 0x1
	s_branch .LBB6_206
	.p2align	6
.LBB6_205:                              ;   in Loop: Header=BB6_206 Depth=2
	s_or_b32 exec_lo, exec_lo, s40
	s_and_b32 s29, exec_lo, s41
	s_or_b32 s25, s29, s25
	s_andn2_b32 s26, s26, exec_lo
	s_and_b32 s29, s27, exec_lo
	s_or_b32 s26, s26, s29
	s_andn2_b32 exec_lo, exec_lo, s25
	s_cbranch_execz .LBB6_240
.LBB6_206:                              ;   Parent Loop BB6_70 Depth=1
                                        ; =>  This Inner Loop Header: Depth=2
	s_add_i32 s28, s28, 1
	s_cmpk_lg_i32 s28, 0x2710
	s_cselect_b32 s29, -1, 0
	s_and_b32 vcc_lo, exec_lo, s29
	s_cbranch_vccz .LBB6_208
; %bb.207:                              ;   in Loop: Header=BB6_206 Depth=2
	s_mov_b32 s41, -1
	s_or_b32 s27, s27, exec_lo
	s_and_saveexec_b32 s40, s29
	s_cbranch_execz .LBB6_205
	s_branch .LBB6_209
	.p2align	6
.LBB6_208:                              ;   in Loop: Header=BB6_206 Depth=2
	s_trap 2
	ds_read_b64 v[10:11], v0
	s_andn2_b32 s29, s29, exec_lo
	s_mov_b32 s28, 0
	s_waitcnt lgkmcnt(0)
	flat_load_dword v10, v[10:11] glc dlc
	s_waitcnt vmcnt(0) lgkmcnt(0)
	buffer_gl1_inv
	buffer_gl0_inv
	v_cmp_eq_u32_e32 vcc_lo, 0, v10
	s_and_b32 s40, vcc_lo, exec_lo
	s_or_b32 s29, s29, s40
	s_mov_b32 s41, -1
	s_or_b32 s27, s27, exec_lo
	s_and_saveexec_b32 s40, s29
	s_cbranch_execz .LBB6_205
.LBB6_209:                              ;   in Loop: Header=BB6_206 Depth=2
	s_sleep 1
	s_trap 2
	ds_read_b64 v[10:11], v0
	s_waitcnt lgkmcnt(0)
	buffer_gl0_inv
	s_andn2_b32 s27, s27, exec_lo
	v_cmp_ge_u64_e32 vcc_lo, v[10:11], v[36:37]
	s_orn2_b32 s41, vcc_lo, exec_lo
	s_branch .LBB6_205
.LBB6_210:                              ;   in Loop: Header=BB6_70 Depth=1
	s_or_b32 exec_lo, exec_lo, s23
	s_or_b32 exec_lo, exec_lo, s22
	s_and_saveexec_b32 s12, s9
	s_cbranch_execz .LBB6_118
.LBB6_211:                              ;   in Loop: Header=BB6_70 Depth=1
	s_and_saveexec_b32 s22, s18
	s_xor_b32 s22, exec_lo, s22
	s_cbranch_execz .LBB6_251
; %bb.212:                              ;   in Loop: Header=BB6_70 Depth=1
	s_and_saveexec_b32 s23, s11
	s_cbranch_execz .LBB6_250
; %bb.213:                              ;   in Loop: Header=BB6_70 Depth=1
	s_mov_b32 s25, exec_lo
	s_mov_b32 s24, exec_lo
	s_waitcnt vmcnt(0)
	v_mbcnt_lo_u32_b32 v10, s25, 0
	s_waitcnt lgkmcnt(0)
	s_waitcnt_vscnt null, 0x0
	buffer_gl1_inv
	buffer_gl0_inv
	v_cmpx_eq_u32_e32 0, v10
	s_cbranch_execz .LBB6_215
; %bb.214:                              ;   in Loop: Header=BB6_70 Depth=1
	s_bcnt1_i32_b32 s25, s25
	v_mov_b32_e32 v38, s25
	ds_add_u64 v0, v[38:39]
	s_trap 2
.LBB6_215:                              ;   in Loop: Header=BB6_70 Depth=1
	s_or_b32 exec_lo, exec_lo, s24
	s_trap 2
	ds_read_b64 v[10:11], v0
	s_waitcnt lgkmcnt(0)
	buffer_gl0_inv
	v_add_co_u32 v36, vcc_lo, v36, v83
	v_add_co_ci_u32_e64 v37, null, 0, v37, vcc_lo
	s_mov_b32 s24, exec_lo
	v_cmpx_lt_u64_e64 v[10:11], v[36:37]
	s_cbranch_execz .LBB6_249
; %bb.216:                              ;   in Loop: Header=BB6_70 Depth=1
	s_mov_b32 s25, 0
	s_mov_b32 s28, 0
                                        ; implicit-def: $sgpr26
                                        ; implicit-def: $sgpr27
	s_inst_prefetch 0x1
	s_branch .LBB6_218
	.p2align	6
.LBB6_217:                              ;   in Loop: Header=BB6_218 Depth=2
	s_or_b32 exec_lo, exec_lo, s40
	s_and_b32 s29, exec_lo, s41
	s_or_b32 s25, s29, s25
	s_andn2_b32 s26, s26, exec_lo
	s_and_b32 s29, s27, exec_lo
	s_or_b32 s26, s26, s29
	s_andn2_b32 exec_lo, exec_lo, s25
	s_cbranch_execz .LBB6_247
.LBB6_218:                              ;   Parent Loop BB6_70 Depth=1
                                        ; =>  This Inner Loop Header: Depth=2
	s_add_i32 s28, s28, 1
	s_cmpk_lg_i32 s28, 0x2710
	s_cselect_b32 s29, -1, 0
	s_and_b32 vcc_lo, exec_lo, s29
	s_cbranch_vccz .LBB6_220
; %bb.219:                              ;   in Loop: Header=BB6_218 Depth=2
	s_mov_b32 s41, -1
	s_or_b32 s27, s27, exec_lo
	s_and_saveexec_b32 s40, s29
	s_cbranch_execz .LBB6_217
	s_branch .LBB6_221
	.p2align	6
.LBB6_220:                              ;   in Loop: Header=BB6_218 Depth=2
	s_trap 2
	ds_read_b64 v[10:11], v0
	s_andn2_b32 s29, s29, exec_lo
	s_mov_b32 s28, 0
	s_waitcnt lgkmcnt(0)
	flat_load_dword v10, v[10:11] glc dlc
	s_waitcnt vmcnt(0) lgkmcnt(0)
	buffer_gl1_inv
	buffer_gl0_inv
	v_cmp_eq_u32_e32 vcc_lo, 0, v10
	s_and_b32 s40, vcc_lo, exec_lo
	s_or_b32 s29, s29, s40
	s_mov_b32 s41, -1
	s_or_b32 s27, s27, exec_lo
	s_and_saveexec_b32 s40, s29
	s_cbranch_execz .LBB6_217
.LBB6_221:                              ;   in Loop: Header=BB6_218 Depth=2
	s_sleep 1
	s_trap 2
	ds_read_b64 v[10:11], v0
	s_waitcnt lgkmcnt(0)
	buffer_gl0_inv
	s_andn2_b32 s27, s27, exec_lo
	v_cmp_ge_u64_e32 vcc_lo, v[10:11], v[36:37]
	s_orn2_b32 s41, vcc_lo, exec_lo
	s_branch .LBB6_217
.LBB6_222:                              ;   in Loop: Header=BB6_70 Depth=1
	s_or_b32 exec_lo, exec_lo, s24
	s_xor_b32 s12, s25, -1
	s_and_saveexec_b32 s24, s12
	s_xor_b32 s12, exec_lo, s24
	s_cbranch_execz .LBB6_224
; %bb.223:                              ;   in Loop: Header=BB6_70 Depth=1
	v_mov_b32_e32 v103, 1
	s_waitcnt vmcnt(0) lgkmcnt(0)
	s_waitcnt_vscnt null, 0x0
	ds_write_b32 v0, v9
	s_trap 2
.LBB6_224:                              ;   in Loop: Header=BB6_70 Depth=1
	s_or_b32 exec_lo, exec_lo, s12
.LBB6_225:                              ;   in Loop: Header=BB6_70 Depth=1
	s_or_b32 exec_lo, exec_lo, s23
	s_and_saveexec_b32 s12, s8
	s_cbranch_execz .LBB6_227
; %bb.226:                              ;   in Loop: Header=BB6_70 Depth=1
	v_and_b32_e32 v38, 0x7ffffff8, v8
	v_cmp_eq_u64_e32 vcc_lo, 0x7ffffff8, v[38:39]
	v_cndmask_b32_e64 v9, v13, s19, vcc_lo
	v_and_b32_e32 v13, 7, v8
	v_lshlrev_b32_e32 v8, 4, v9
	v_mad_u64_u32 v[66:67], null, v13, 24, v[6:7]
	v_ashrrev_i32_e32 v9, 31, v8
	flat_store_dwordx2 v[66:67], v[8:9] offset:8
	s_waitcnt_vscnt null, 0x0
.LBB6_227:                              ;   in Loop: Header=BB6_70 Depth=1
	s_or_b32 exec_lo, exec_lo, s12
	v_mov_b32_e32 v8, v10
	v_mov_b32_e32 v9, v11
.LBB6_228:                              ;   in Loop: Header=BB6_70 Depth=1
	s_or_b32 exec_lo, exec_lo, s22
	s_and_saveexec_b32 s12, s9
	s_cbranch_execz .LBB6_261
; %bb.229:                              ;   in Loop: Header=BB6_70 Depth=1
	s_and_saveexec_b32 s22, s18
	s_xor_b32 s22, exec_lo, s22
	s_cbranch_execz .LBB6_258
; %bb.230:                              ;   in Loop: Header=BB6_70 Depth=1
	s_and_saveexec_b32 s23, s11
	s_cbranch_execz .LBB6_257
; %bb.231:                              ;   in Loop: Header=BB6_70 Depth=1
	s_mov_b32 s25, exec_lo
	s_mov_b32 s24, exec_lo
	v_mbcnt_lo_u32_b32 v10, s25, 0
	s_waitcnt vmcnt(0) lgkmcnt(0)
	s_waitcnt_vscnt null, 0x0
	buffer_gl1_inv
	buffer_gl0_inv
	v_cmpx_eq_u32_e32 0, v10
	s_cbranch_execz .LBB6_233
; %bb.232:                              ;   in Loop: Header=BB6_70 Depth=1
	s_bcnt1_i32_b32 s25, s25
	v_mov_b32_e32 v38, s25
	ds_add_u64 v0, v[38:39]
	s_trap 2
.LBB6_233:                              ;   in Loop: Header=BB6_70 Depth=1
	s_or_b32 exec_lo, exec_lo, s24
	s_trap 2
	ds_read_b64 v[10:11], v0
	s_waitcnt lgkmcnt(0)
	buffer_gl0_inv
	v_add_co_u32 v36, vcc_lo, v36, v83
	v_add_co_ci_u32_e64 v37, null, 0, v37, vcc_lo
	s_mov_b32 s24, exec_lo
	v_cmpx_lt_u64_e64 v[10:11], v[36:37]
	s_cbranch_execz .LBB6_256
; %bb.234:                              ;   in Loop: Header=BB6_70 Depth=1
	s_mov_b32 s25, 0
	s_mov_b32 s28, 0
                                        ; implicit-def: $sgpr26
                                        ; implicit-def: $sgpr27
	s_inst_prefetch 0x1
	s_branch .LBB6_236
	.p2align	6
.LBB6_235:                              ;   in Loop: Header=BB6_236 Depth=2
	s_or_b32 exec_lo, exec_lo, s40
	s_and_b32 s29, exec_lo, s41
	s_or_b32 s25, s29, s25
	s_andn2_b32 s26, s26, exec_lo
	s_and_b32 s29, s27, exec_lo
	s_or_b32 s26, s26, s29
	s_andn2_b32 exec_lo, exec_lo, s25
	s_cbranch_execz .LBB6_254
.LBB6_236:                              ;   Parent Loop BB6_70 Depth=1
                                        ; =>  This Inner Loop Header: Depth=2
	s_add_i32 s28, s28, 1
	s_cmpk_lg_i32 s28, 0x2710
	s_cselect_b32 s29, -1, 0
	s_and_b32 vcc_lo, exec_lo, s29
	s_cbranch_vccz .LBB6_238
; %bb.237:                              ;   in Loop: Header=BB6_236 Depth=2
	s_mov_b32 s41, -1
	s_or_b32 s27, s27, exec_lo
	s_and_saveexec_b32 s40, s29
	s_cbranch_execz .LBB6_235
	s_branch .LBB6_239
	.p2align	6
.LBB6_238:                              ;   in Loop: Header=BB6_236 Depth=2
	s_trap 2
	ds_read_b64 v[10:11], v0
	s_andn2_b32 s29, s29, exec_lo
	s_mov_b32 s28, 0
	s_waitcnt lgkmcnt(0)
	flat_load_dword v10, v[10:11] glc dlc
	s_waitcnt vmcnt(0) lgkmcnt(0)
	buffer_gl1_inv
	buffer_gl0_inv
	v_cmp_eq_u32_e32 vcc_lo, 0, v10
	s_and_b32 s40, vcc_lo, exec_lo
	s_or_b32 s29, s29, s40
	s_mov_b32 s41, -1
	s_or_b32 s27, s27, exec_lo
	s_and_saveexec_b32 s40, s29
	s_cbranch_execz .LBB6_235
.LBB6_239:                              ;   in Loop: Header=BB6_236 Depth=2
	s_sleep 1
	s_trap 2
	ds_read_b64 v[10:11], v0
	s_waitcnt lgkmcnt(0)
	buffer_gl0_inv
	s_andn2_b32 s27, s27, exec_lo
	v_cmp_ge_u64_e32 vcc_lo, v[10:11], v[36:37]
	s_orn2_b32 s41, vcc_lo, exec_lo
	s_branch .LBB6_235
.LBB6_240:                              ;   in Loop: Header=BB6_70 Depth=1
	s_inst_prefetch 0x2
	s_or_b32 exec_lo, exec_lo, s25
	s_and_saveexec_b32 s25, s26
	s_xor_b32 s25, exec_lo, s25
	s_cbranch_execz .LBB6_242
; %bb.241:                              ;   in Loop: Header=BB6_70 Depth=1
	ds_write_b32 v0, v102
	s_trap 2
.LBB6_242:                              ;   in Loop: Header=BB6_70 Depth=1
	s_or_b32 exec_lo, exec_lo, s24
	;;#ASMSTART
	s_wakeup
	;;#ASMEND
.LBB6_243:                              ;   in Loop: Header=BB6_70 Depth=1
	s_or_b32 exec_lo, exec_lo, s23
.LBB6_244:                              ;   in Loop: Header=BB6_70 Depth=1
	s_andn2_saveexec_b32 s22, s22
	s_cbranch_execz .LBB6_246
; %bb.245:                              ;   in Loop: Header=BB6_70 Depth=1
	s_waitcnt vmcnt(0) lgkmcnt(0)
	s_waitcnt_vscnt null, 0x0
	buffer_gl1_inv
	buffer_gl0_inv
	s_barrier
.LBB6_246:                              ;   in Loop: Header=BB6_70 Depth=1
	s_or_b32 exec_lo, exec_lo, s22
	s_or_b32 exec_lo, exec_lo, s12
	s_and_saveexec_b32 s12, s10
	s_cbranch_execnz .LBB6_110
	s_branch .LBB6_111
.LBB6_247:                              ;   in Loop: Header=BB6_70 Depth=1
	s_inst_prefetch 0x2
	s_or_b32 exec_lo, exec_lo, s25
	s_and_saveexec_b32 s25, s26
	s_xor_b32 s25, exec_lo, s25
	s_cbranch_execz .LBB6_249
; %bb.248:                              ;   in Loop: Header=BB6_70 Depth=1
	ds_write_b32 v0, v102
	s_trap 2
.LBB6_249:                              ;   in Loop: Header=BB6_70 Depth=1
	s_or_b32 exec_lo, exec_lo, s24
	;;#ASMSTART
	s_wakeup
	;;#ASMEND
.LBB6_250:                              ;   in Loop: Header=BB6_70 Depth=1
	s_or_b32 exec_lo, exec_lo, s23
.LBB6_251:                              ;   in Loop: Header=BB6_70 Depth=1
	s_andn2_saveexec_b32 s22, s22
	s_cbranch_execz .LBB6_253
; %bb.252:                              ;   in Loop: Header=BB6_70 Depth=1
	s_waitcnt vmcnt(0) lgkmcnt(0)
	s_waitcnt_vscnt null, 0x0
	buffer_gl1_inv
	buffer_gl0_inv
	s_barrier
.LBB6_253:                              ;   in Loop: Header=BB6_70 Depth=1
	s_or_b32 exec_lo, exec_lo, s22
	s_or_b32 exec_lo, exec_lo, s12
	s_and_saveexec_b32 s12, s10
	s_cbranch_execnz .LBB6_119
	s_branch .LBB6_120
.LBB6_254:                              ;   in Loop: Header=BB6_70 Depth=1
	s_inst_prefetch 0x2
	s_or_b32 exec_lo, exec_lo, s25
	s_and_saveexec_b32 s25, s26
	s_xor_b32 s25, exec_lo, s25
	s_cbranch_execz .LBB6_256
; %bb.255:                              ;   in Loop: Header=BB6_70 Depth=1
	ds_write_b32 v0, v102
	s_trap 2
.LBB6_256:                              ;   in Loop: Header=BB6_70 Depth=1
	s_or_b32 exec_lo, exec_lo, s24
	;;#ASMSTART
	s_wakeup
	;;#ASMEND
.LBB6_257:                              ;   in Loop: Header=BB6_70 Depth=1
	s_or_b32 exec_lo, exec_lo, s23
.LBB6_258:                              ;   in Loop: Header=BB6_70 Depth=1
	s_andn2_saveexec_b32 s22, s22
	s_cbranch_execz .LBB6_260
; %bb.259:                              ;   in Loop: Header=BB6_70 Depth=1
	s_waitcnt vmcnt(0) lgkmcnt(0)
	s_waitcnt_vscnt null, 0x0
	buffer_gl1_inv
	buffer_gl0_inv
	s_barrier
.LBB6_260:                              ;   in Loop: Header=BB6_70 Depth=1
	s_or_b32 exec_lo, exec_lo, s22
.LBB6_261:                              ;   in Loop: Header=BB6_70 Depth=1
	s_or_b32 exec_lo, exec_lo, s12
	v_sub_nc_u32_e32 v71, v12, v84
	v_mov_b32_e32 v66, v0
	s_mov_b32 s22, exec_lo
	v_cmpx_lt_i32_e32 0, v71
	s_cbranch_execz .LBB6_287
; %bb.262:                              ;   in Loop: Header=BB6_70 Depth=1
	v_and_b32_e32 v10, 7, v26
	v_mov_b32_e32 v67, 0
	v_add_nc_u32_e32 v112, v3, v12
	v_mov_b32_e32 v68, 0
	v_mov_b32_e32 v113, v96
	v_mul_lo_u32 v10, v10, s19
	v_mov_b32_e32 v66, v0
	s_mov_b32 s23, 0
	v_ashrrev_i32_e32 v11, 31, v10
	v_lshlrev_b64 v[69:70], 4, v[10:11]
	v_add_nc_u32_e32 v11, 1, v26
	v_add_co_u32 v69, vcc_lo, v100, v69
	v_add_co_ci_u32_e64 v70, null, v101, v70, vcc_lo
	s_branch .LBB6_264
.LBB6_263:                              ;   in Loop: Header=BB6_264 Depth=2
	v_sub_nc_u32_e32 v71, v71, v85
	v_add_co_u32 v67, vcc_lo, v67, v85
	v_add_co_ci_u32_e64 v68, null, 0, v68, vcc_lo
	v_cmp_gt_i32_e32 vcc_lo, 1, v71
	v_add_co_u32 v69, s12, v69, v52
	v_add_nc_u32_e32 v66, v66, v2
	v_add_nc_u32_e32 v113, v113, v98
	v_add_co_ci_u32_e64 v70, null, v70, v53, s12
	s_or_b32 s23, vcc_lo, s23
	s_andn2_b32 exec_lo, exec_lo, s23
	s_cbranch_execz .LBB6_286
.LBB6_264:                              ;   Parent Loop BB6_70 Depth=1
                                        ; =>  This Inner Loop Header: Depth=2
	v_add_co_u32 v38, vcc_lo, v54, v67
	v_add_co_ci_u32_e64 v13, null, v55, v68, vcc_lo
	v_min_u32_e32 v80, 8, v71
	v_and_b32_e32 v12, -4, v38
	v_and_b32_e32 v38, 3, v38
	v_mov_b32_e32 v81, 0
	s_mov_b32 s12, exec_lo
	global_load_dword v10, v[12:13], off slc
	v_add_nc_u32_e32 v38, v38, v80
	v_mov_b32_e32 v80, 0
	v_cmpx_lt_u32_e32 4, v38
	s_cbranch_execz .LBB6_266
; %bb.265:                              ;   in Loop: Header=BB6_264 Depth=2
	global_load_dword v81, v[12:13], off offset:4 slc
.LBB6_266:                              ;   in Loop: Header=BB6_264 Depth=2
	s_or_b32 exec_lo, exec_lo, s12
	s_mov_b32 s12, exec_lo
	v_cmpx_lt_u64_e32 8, v[38:39]
	s_cbranch_execz .LBB6_268
; %bb.267:                              ;   in Loop: Header=BB6_264 Depth=2
	global_load_dword v80, v[12:13], off offset:8 slc
.LBB6_268:                              ;   in Loop: Header=BB6_264 Depth=2
	s_or_b32 exec_lo, exec_lo, s12
	s_waitcnt vmcnt(0)
	v_alignbit_b32 v12, v80, v81, v113
	v_cmp_lt_u32_e32 vcc_lo, 7, v71
	v_add_co_u32 v80, s12, v1, v67
	v_alignbit_b32 v10, v81, v10, v113
	v_mov_b32_e32 v13, v11
	v_add_co_ci_u32_e64 v81, null, v99, v68, s12
	s_cmp_lg_u32 vcc_lo, exec_lo
	s_mov_b32 s12, -1
	global_store_dwordx4 v[69:70], v[10:13], off
	s_cbranch_scc0 .LBB6_284
; %bb.269:                              ;   in Loop: Header=BB6_264 Depth=2
	s_mov_b32 s24, exec_lo
	flat_store_byte v[80:81], v10
	v_cmpx_ne_u32_e64 v112, v67
	s_cbranch_execz .LBB6_271
; %bb.270:                              ;   in Loop: Header=BB6_264 Depth=2
	v_lshrrev_b32_e32 v13, 8, v10
	flat_store_byte v[80:81], v13 offset:1
.LBB6_271:                              ;   in Loop: Header=BB6_264 Depth=2
	s_or_b32 exec_lo, exec_lo, s24
	s_mov_b32 s24, exec_lo
	v_cmpx_lt_u32_e32 2, v71
	s_cbranch_execz .LBB6_273
; %bb.272:                              ;   in Loop: Header=BB6_264 Depth=2
	flat_store_byte_d16_hi v[80:81], v10 offset:2
.LBB6_273:                              ;   in Loop: Header=BB6_264 Depth=2
	s_or_b32 exec_lo, exec_lo, s24
	s_mov_b32 s24, exec_lo
	v_cmpx_lt_u32_e32 3, v71
	s_cbranch_execz .LBB6_275
; %bb.274:                              ;   in Loop: Header=BB6_264 Depth=2
	v_lshrrev_b32_e32 v13, 24, v10
	flat_store_byte v[80:81], v13 offset:3
.LBB6_275:                              ;   in Loop: Header=BB6_264 Depth=2
	s_or_b32 exec_lo, exec_lo, s24
	s_mov_b32 s24, exec_lo
	v_cmpx_lt_u32_e32 4, v71
	s_cbranch_execz .LBB6_277
; %bb.276:                              ;   in Loop: Header=BB6_264 Depth=2
	flat_store_byte v[80:81], v12 offset:4
.LBB6_277:                              ;   in Loop: Header=BB6_264 Depth=2
	s_or_b32 exec_lo, exec_lo, s24
	s_mov_b32 s24, exec_lo
	v_cmpx_lt_u32_e32 5, v71
	s_cbranch_execz .LBB6_279
; %bb.278:                              ;   in Loop: Header=BB6_264 Depth=2
	v_lshrrev_b32_e32 v13, 8, v12
	flat_store_byte v[80:81], v13 offset:5
.LBB6_279:                              ;   in Loop: Header=BB6_264 Depth=2
	s_or_b32 exec_lo, exec_lo, s24
	s_mov_b32 s24, exec_lo
	v_cmpx_lt_u32_e32 6, v71
	s_cbranch_execz .LBB6_281
; %bb.280:                              ;   in Loop: Header=BB6_264 Depth=2
	flat_store_byte_d16_hi v[80:81], v12 offset:6
.LBB6_281:                              ;   in Loop: Header=BB6_264 Depth=2
	s_or_b32 exec_lo, exec_lo, s24
	s_and_saveexec_b32 s12, vcc_lo
	s_cbranch_execz .LBB6_283
; %bb.282:                              ;   in Loop: Header=BB6_264 Depth=2
	v_lshrrev_b32_e32 v13, 24, v12
	flat_store_byte v[80:81], v13 offset:7
.LBB6_283:                              ;   in Loop: Header=BB6_264 Depth=2
	s_or_b32 exec_lo, exec_lo, s12
	s_mov_b32 s12, 0
.LBB6_284:                              ;   in Loop: Header=BB6_264 Depth=2
	s_and_b32 vcc_lo, exec_lo, s12
	s_cbranch_vccz .LBB6_263
; %bb.285:                              ;   in Loop: Header=BB6_264 Depth=2
	v_mov_b32_e32 v114, v10
	v_mov_b32_e32 v115, v12
	global_store_dwordx2 v[80:81], v[114:115], off
	s_branch .LBB6_263
.LBB6_286:                              ;   in Loop: Header=BB6_70 Depth=1
	s_or_b32 exec_lo, exec_lo, s23
.LBB6_287:                              ;   in Loop: Header=BB6_70 Depth=1
	s_or_b32 exec_lo, exec_lo, s22
	v_and_b32_e32 v38, 0x7ffffff8, v26
	v_cmp_gt_i32_e64 s12, s19, v66
	v_cmp_eq_u64_e32 vcc_lo, 0x7ffffff8, v[38:39]
	s_and_b32 s12, vcc_lo, s12
	s_and_saveexec_b32 s22, s12
	s_cbranch_execz .LBB6_290
; %bb.288:                              ;   in Loop: Header=BB6_70 Depth=1
	v_and_b32_e32 v10, 7, v26
	v_ashrrev_i32_e32 v67, 31, v66
	s_mov_b32 s23, 0
	v_mul_lo_u32 v10, v10, s19
	v_lshlrev_b64 v[12:13], 4, v[66:67]
	v_ashrrev_i32_e32 v11, 31, v10
	v_lshlrev_b64 v[67:68], 4, v[10:11]
	v_add_nc_u32_e32 v11, 1, v26
	v_mov_b32_e32 v10, v39
	v_add_co_u32 v12, vcc_lo, v12, v67
	v_add_co_ci_u32_e64 v13, null, v13, v68, vcc_lo
	v_add_co_u32 v67, vcc_lo, v24, v12
	v_add_co_ci_u32_e64 v68, null, v25, v13, vcc_lo
.LBB6_289:                              ;   Parent Loop BB6_70 Depth=1
                                        ; =>  This Inner Loop Header: Depth=2
	v_mov_b32_e32 v12, v10
	v_add_nc_u32_e32 v66, v66, v2
	v_mov_b32_e32 v13, v11
	v_cmp_le_i32_e32 vcc_lo, s19, v66
	global_store_dwordx4 v[67:68], v[10:13], off
	v_add_co_u32 v67, s12, v67, v52
	v_add_co_ci_u32_e64 v68, null, v68, v53, s12
	s_or_b32 s23, vcc_lo, s23
	s_andn2_b32 exec_lo, exec_lo, s23
	s_cbranch_execnz .LBB6_289
.LBB6_290:                              ;   in Loop: Header=BB6_70 Depth=1
	s_or_b32 exec_lo, exec_lo, s22
	v_add_co_u32 v26, vcc_lo, v26, 1
	v_add_co_ci_u32_e64 v27, null, 0, v27, vcc_lo
                                        ; implicit-def: $vgpr12
                                        ; implicit-def: $vgpr13
.LBB6_291:                              ;   in Loop: Header=BB6_70 Depth=1
	s_andn2_saveexec_b32 s21, s21
	s_cbranch_execz .LBB6_68
; %bb.292:                              ;   in Loop: Header=BB6_70 Depth=1
	s_and_saveexec_b32 s22, s7
	s_cbranch_execz .LBB6_308
; %bb.293:                              ;   in Loop: Header=BB6_70 Depth=1
	v_add_co_u32 v10, vcc_lo, v8, 1
	v_add_co_ci_u32_e64 v11, null, 0, v9, vcc_lo
	s_waitcnt vmcnt(0) lgkmcnt(0)
	v_add_co_u32 v66, vcc_lo, v50, 8
	v_add_co_ci_u32_e64 v67, null, 0, v51, vcc_lo
	s_mov_b32 s23, exec_lo
	v_cmpx_lt_u64_e64 v[66:67], v[10:11]
	s_cbranch_execz .LBB6_305
; %bb.294:                              ;   in Loop: Header=BB6_70 Depth=1
	s_mov_b32 s24, 0
	s_mov_b32 s28, 0
	v_cmp_eq_u32_e32 vcc_lo, 0, v103
                                        ; implicit-def: $sgpr25
                                        ; implicit-def: $sgpr26
                                        ; implicit-def: $sgpr27
	s_branch .LBB6_297
.LBB6_295:                              ;   in Loop: Header=BB6_297 Depth=2
	s_or_b32 exec_lo, exec_lo, s43
	s_andn2_b32 s12, s27, exec_lo
	s_and_b32 s27, s41, exec_lo
	s_andn2_b32 s26, s26, exec_lo
	s_and_b32 s40, s40, exec_lo
	s_or_b32 s27, s12, s27
	s_or_b32 s26, s26, s40
.LBB6_296:                              ;   in Loop: Header=BB6_297 Depth=2
	s_or_b32 exec_lo, exec_lo, s29
	s_and_b32 s12, exec_lo, s26
	s_or_b32 s24, s12, s24
	s_andn2_b32 s12, s25, exec_lo
	s_and_b32 s25, s27, exec_lo
	s_or_b32 s25, s12, s25
	s_andn2_b32 exec_lo, exec_lo, s24
	s_cbranch_execz .LBB6_302
.LBB6_297:                              ;   Parent Loop BB6_70 Depth=1
                                        ; =>  This Inner Loop Header: Depth=2
	s_sleep 1
	s_waitcnt vmcnt(0) lgkmcnt(0)
	flat_load_dwordx2 v[50:51], v[34:35] glc dlc
	v_mov_b32_e32 v103, 1
	s_or_b32 s27, s27, exec_lo
	s_or_b32 s26, s26, exec_lo
                                        ; implicit-def: $vgpr9
	s_and_saveexec_b32 s29, vcc_lo
	s_cbranch_execz .LBB6_296
; %bb.298:                              ;   in Loop: Header=BB6_297 Depth=2
	s_add_i32 s28, s28, 1
	s_mov_b32 s40, -1
	s_cmpk_lg_i32 s28, 0x2710
	s_mov_b32 s41, -1
	s_cselect_b32 s42, -1, 0
	s_cmpk_eq_i32 s28, 0x2710
                                        ; implicit-def: $vgpr9
	s_cbranch_scc1 .LBB6_300
; %bb.299:                              ;   in Loop: Header=BB6_297 Depth=2
	v_mov_b32_e32 v103, 1
	s_and_saveexec_b32 s43, s42
	s_cbranch_execz .LBB6_295
	s_branch .LBB6_301
.LBB6_300:                              ;   in Loop: Header=BB6_297 Depth=2
	s_trap 2
	ds_read_b64 v[66:67], v0
	s_andn2_b32 s28, s42, exec_lo
	s_mov_b32 s41, 0
	s_waitcnt vmcnt(0) lgkmcnt(0)
	s_waitcnt_vscnt null, 0x0
	flat_load_dword v9, v[66:67] glc dlc
	s_waitcnt vmcnt(0) lgkmcnt(0)
	buffer_gl1_inv
	buffer_gl0_inv
	v_cmp_eq_u32_e64 s12, 0, v9
	s_and_b32 s12, s12, exec_lo
	s_or_b32 s42, s28, s12
	s_mov_b32 s28, 0
	v_mov_b32_e32 v103, 1
	s_and_saveexec_b32 s43, s42
	s_cbranch_execz .LBB6_295
.LBB6_301:                              ;   in Loop: Header=BB6_297 Depth=2
	s_waitcnt vmcnt(0) lgkmcnt(0)
	v_add_co_u32 v66, s12, v50, 8
	v_add_co_ci_u32_e64 v67, null, 0, v51, s12
	v_mov_b32_e32 v103, 0
	s_or_b32 s41, s41, exec_lo
	v_cmp_ge_u64_e64 s12, v[66:67], v[10:11]
	s_orn2_b32 s40, s12, exec_lo
	s_branch .LBB6_295
.LBB6_302:                              ;   in Loop: Header=BB6_70 Depth=1
	s_or_b32 exec_lo, exec_lo, s24
	s_xor_b32 s12, s25, -1
	s_and_saveexec_b32 s24, s12
	s_xor_b32 s12, exec_lo, s24
	s_cbranch_execz .LBB6_304
; %bb.303:                              ;   in Loop: Header=BB6_70 Depth=1
	v_mov_b32_e32 v103, 1
	s_waitcnt vmcnt(0) lgkmcnt(0)
	s_waitcnt_vscnt null, 0x0
	ds_write_b32 v0, v9
	s_trap 2
.LBB6_304:                              ;   in Loop: Header=BB6_70 Depth=1
	s_or_b32 exec_lo, exec_lo, s12
.LBB6_305:                              ;   in Loop: Header=BB6_70 Depth=1
	s_or_b32 exec_lo, exec_lo, s23
	s_and_saveexec_b32 s12, s8
	s_cbranch_execz .LBB6_307
; %bb.306:                              ;   in Loop: Header=BB6_70 Depth=1
	v_and_b32_e32 v38, 0x7ffffff8, v8
	v_cmp_eq_u64_e32 vcc_lo, 0x7ffffff8, v[38:39]
	v_cndmask_b32_e64 v9, v13, s19, vcc_lo
	v_and_b32_e32 v13, 7, v8
	v_lshlrev_b32_e32 v8, 4, v9
	v_mad_u64_u32 v[66:67], null, v13, 24, v[6:7]
	v_ashrrev_i32_e32 v9, 31, v8
	flat_store_dwordx2 v[66:67], v[8:9] offset:8
	s_waitcnt_vscnt null, 0x0
.LBB6_307:                              ;   in Loop: Header=BB6_70 Depth=1
	s_or_b32 exec_lo, exec_lo, s12
	v_mov_b32_e32 v8, v10
	v_mov_b32_e32 v9, v11
.LBB6_308:                              ;   in Loop: Header=BB6_70 Depth=1
	s_or_b32 exec_lo, exec_lo, s22
	s_and_saveexec_b32 s12, s9
	s_cbranch_execz .LBB6_327
; %bb.309:                              ;   in Loop: Header=BB6_70 Depth=1
	s_and_saveexec_b32 s22, s18
	s_xor_b32 s22, exec_lo, s22
	s_cbranch_execz .LBB6_324
; %bb.310:                              ;   in Loop: Header=BB6_70 Depth=1
	s_and_saveexec_b32 s23, s11
	s_cbranch_execz .LBB6_323
; %bb.311:                              ;   in Loop: Header=BB6_70 Depth=1
	s_mov_b32 s25, exec_lo
	s_mov_b32 s24, exec_lo
	v_mbcnt_lo_u32_b32 v10, s25, 0
	s_waitcnt vmcnt(0) lgkmcnt(0)
	s_waitcnt_vscnt null, 0x0
	buffer_gl1_inv
	buffer_gl0_inv
	v_cmpx_eq_u32_e32 0, v10
	s_cbranch_execz .LBB6_313
; %bb.312:                              ;   in Loop: Header=BB6_70 Depth=1
	s_bcnt1_i32_b32 s25, s25
	v_mov_b32_e32 v38, s25
	ds_add_u64 v0, v[38:39]
	s_trap 2
.LBB6_313:                              ;   in Loop: Header=BB6_70 Depth=1
	s_or_b32 exec_lo, exec_lo, s24
	s_trap 2
	ds_read_b64 v[10:11], v0
	s_waitcnt lgkmcnt(0)
	buffer_gl0_inv
	v_add_co_u32 v36, vcc_lo, v36, v83
	v_add_co_ci_u32_e64 v37, null, 0, v37, vcc_lo
	s_mov_b32 s24, exec_lo
	v_cmpx_lt_u64_e64 v[10:11], v[36:37]
	s_cbranch_execz .LBB6_322
; %bb.314:                              ;   in Loop: Header=BB6_70 Depth=1
	s_mov_b32 s25, 0
	s_mov_b32 s28, 0
                                        ; implicit-def: $sgpr26
                                        ; implicit-def: $sgpr27
	s_inst_prefetch 0x1
	s_branch .LBB6_316
	.p2align	6
.LBB6_315:                              ;   in Loop: Header=BB6_316 Depth=2
	s_or_b32 exec_lo, exec_lo, s40
	s_and_b32 s29, exec_lo, s41
	s_or_b32 s25, s29, s25
	s_andn2_b32 s26, s26, exec_lo
	s_and_b32 s29, s27, exec_lo
	s_or_b32 s26, s26, s29
	s_andn2_b32 exec_lo, exec_lo, s25
	s_cbranch_execz .LBB6_320
.LBB6_316:                              ;   Parent Loop BB6_70 Depth=1
                                        ; =>  This Inner Loop Header: Depth=2
	s_add_i32 s28, s28, 1
	s_cmpk_lg_i32 s28, 0x2710
	s_cselect_b32 s29, -1, 0
	s_and_b32 vcc_lo, exec_lo, s29
	s_cbranch_vccz .LBB6_318
; %bb.317:                              ;   in Loop: Header=BB6_316 Depth=2
	s_mov_b32 s41, -1
	s_or_b32 s27, s27, exec_lo
	s_and_saveexec_b32 s40, s29
	s_cbranch_execz .LBB6_315
	s_branch .LBB6_319
	.p2align	6
.LBB6_318:                              ;   in Loop: Header=BB6_316 Depth=2
	s_trap 2
	ds_read_b64 v[10:11], v0
	s_andn2_b32 s29, s29, exec_lo
	s_mov_b32 s28, 0
	s_waitcnt lgkmcnt(0)
	flat_load_dword v10, v[10:11] glc dlc
	s_waitcnt vmcnt(0) lgkmcnt(0)
	buffer_gl1_inv
	buffer_gl0_inv
	v_cmp_eq_u32_e32 vcc_lo, 0, v10
	s_and_b32 s40, vcc_lo, exec_lo
	s_or_b32 s29, s29, s40
	s_mov_b32 s41, -1
	s_or_b32 s27, s27, exec_lo
	s_and_saveexec_b32 s40, s29
	s_cbranch_execz .LBB6_315
.LBB6_319:                              ;   in Loop: Header=BB6_316 Depth=2
	s_sleep 1
	s_trap 2
	ds_read_b64 v[10:11], v0
	s_waitcnt lgkmcnt(0)
	buffer_gl0_inv
	s_andn2_b32 s27, s27, exec_lo
	v_cmp_ge_u64_e32 vcc_lo, v[10:11], v[36:37]
	s_orn2_b32 s41, vcc_lo, exec_lo
	s_branch .LBB6_315
.LBB6_320:                              ;   in Loop: Header=BB6_70 Depth=1
	s_inst_prefetch 0x2
	s_or_b32 exec_lo, exec_lo, s25
	s_and_saveexec_b32 s25, s26
	s_xor_b32 s25, exec_lo, s25
	s_cbranch_execz .LBB6_322
; %bb.321:                              ;   in Loop: Header=BB6_70 Depth=1
	ds_write_b32 v0, v102
	s_trap 2
.LBB6_322:                              ;   in Loop: Header=BB6_70 Depth=1
	s_or_b32 exec_lo, exec_lo, s24
	;;#ASMSTART
	s_wakeup
	;;#ASMEND
.LBB6_323:                              ;   in Loop: Header=BB6_70 Depth=1
	s_or_b32 exec_lo, exec_lo, s23
.LBB6_324:                              ;   in Loop: Header=BB6_70 Depth=1
	s_andn2_saveexec_b32 s22, s22
	s_cbranch_execz .LBB6_326
; %bb.325:                              ;   in Loop: Header=BB6_70 Depth=1
	s_waitcnt vmcnt(0) lgkmcnt(0)
	s_waitcnt_vscnt null, 0x0
	buffer_gl1_inv
	buffer_gl0_inv
	s_barrier
.LBB6_326:                              ;   in Loop: Header=BB6_70 Depth=1
	s_or_b32 exec_lo, exec_lo, s22
.LBB6_327:                              ;   in Loop: Header=BB6_70 Depth=1
	s_or_b32 exec_lo, exec_lo, s12
	v_sub_nc_u32_e32 v80, v12, v84
	v_and_b32_e32 v71, 7, v26
	v_add_nc_u32_e32 v11, 1, v26
	v_mov_b32_e32 v66, v0
	s_mov_b32 s22, exec_lo
	v_cmpx_lt_i32_e32 0, v80
	s_cbranch_execz .LBB6_335
; %bb.328:                              ;   in Loop: Header=BB6_70 Depth=1
	v_mul_lo_u32 v12, v71, s19
	v_mov_b32_e32 v68, v55
	v_mov_b32_e32 v81, v96
	;; [unrolled: 1-line block ×4, first 2 shown]
	s_mov_b32 s23, 0
	v_ashrrev_i32_e32 v13, 31, v12
	v_lshlrev_b64 v[12:13], 4, v[12:13]
	v_add_co_u32 v69, vcc_lo, v100, v12
	v_add_co_ci_u32_e64 v70, null, v101, v13, vcc_lo
	s_inst_prefetch 0x1
	s_branch .LBB6_330
	.p2align	6
.LBB6_329:                              ;   in Loop: Header=BB6_330 Depth=2
	s_or_b32 exec_lo, exec_lo, s12
	s_waitcnt vmcnt(0)
	v_alignbit_b32 v10, v113, v10, v81
	v_alignbit_b32 v12, v112, v113, v81
	v_mov_b32_e32 v13, v11
	v_sub_nc_u32_e32 v80, v80, v85
	v_add_co_u32 v67, vcc_lo, v67, v85
	v_add_co_ci_u32_e64 v68, null, 0, v68, vcc_lo
	global_store_dwordx4 v[69:70], v[10:13], off
	v_cmp_gt_i32_e32 vcc_lo, 1, v80
	v_add_co_u32 v69, s12, v69, v52
	v_add_nc_u32_e32 v66, v66, v2
	v_add_nc_u32_e32 v81, v81, v98
	v_add_co_ci_u32_e64 v70, null, v70, v53, s12
	s_or_b32 s23, vcc_lo, s23
	s_andn2_b32 exec_lo, exec_lo, s23
	s_cbranch_execz .LBB6_334
.LBB6_330:                              ;   Parent Loop BB6_70 Depth=1
                                        ; =>  This Inner Loop Header: Depth=2
	v_and_b32_e32 v12, -4, v67
	v_mov_b32_e32 v13, v68
	v_min_u32_e32 v38, 8, v80
	v_and_b32_e32 v112, 3, v67
	v_mov_b32_e32 v113, 0
	s_mov_b32 s12, exec_lo
	global_load_dword v10, v[12:13], off slc
	v_add_nc_u32_e32 v38, v112, v38
	v_mov_b32_e32 v112, 0
	v_cmpx_lt_u32_e32 4, v38
	s_cbranch_execz .LBB6_332
; %bb.331:                              ;   in Loop: Header=BB6_330 Depth=2
	global_load_dword v113, v[12:13], off offset:4 slc
.LBB6_332:                              ;   in Loop: Header=BB6_330 Depth=2
	s_or_b32 exec_lo, exec_lo, s12
	s_mov_b32 s12, exec_lo
	v_cmpx_lt_u64_e32 8, v[38:39]
	s_cbranch_execz .LBB6_329
; %bb.333:                              ;   in Loop: Header=BB6_330 Depth=2
	global_load_dword v112, v[12:13], off offset:8 slc
	s_branch .LBB6_329
.LBB6_334:                              ;   in Loop: Header=BB6_70 Depth=1
	s_inst_prefetch 0x2
	s_or_b32 exec_lo, exec_lo, s23
.LBB6_335:                              ;   in Loop: Header=BB6_70 Depth=1
	s_or_b32 exec_lo, exec_lo, s22
	v_and_b32_e32 v38, 0x7ffffff8, v26
	v_cmp_gt_i32_e64 s12, s19, v66
	v_cmp_eq_u64_e32 vcc_lo, 0x7ffffff8, v[38:39]
	s_and_b32 s12, vcc_lo, s12
	s_and_saveexec_b32 s22, s12
	s_cbranch_execz .LBB6_67
; %bb.336:                              ;   in Loop: Header=BB6_70 Depth=1
	v_mul_lo_u32 v12, v71, s19
	v_ashrrev_i32_e32 v67, 31, v66
	v_mov_b32_e32 v10, v39
	s_mov_b32 s23, 0
	v_lshlrev_b64 v[67:68], 4, v[66:67]
	v_ashrrev_i32_e32 v13, 31, v12
	v_lshlrev_b64 v[12:13], 4, v[12:13]
	v_add_co_u32 v12, vcc_lo, v67, v12
	v_add_co_ci_u32_e64 v13, null, v68, v13, vcc_lo
	v_add_co_u32 v67, vcc_lo, v24, v12
	v_add_co_ci_u32_e64 v68, null, v25, v13, vcc_lo
.LBB6_337:                              ;   Parent Loop BB6_70 Depth=1
                                        ; =>  This Inner Loop Header: Depth=2
	v_mov_b32_e32 v12, v10
	v_add_nc_u32_e32 v66, v66, v2
	v_mov_b32_e32 v13, v11
	v_cmp_le_i32_e32 vcc_lo, s19, v66
	global_store_dwordx4 v[67:68], v[10:13], off
	v_add_co_u32 v67, s12, v67, v52
	v_add_co_ci_u32_e64 v68, null, v68, v53, s12
	s_or_b32 s23, vcc_lo, s23
	s_andn2_b32 exec_lo, exec_lo, s23
	s_cbranch_execnz .LBB6_337
	s_branch .LBB6_67
.LBB6_338:
	s_or_b32 exec_lo, exec_lo, s13
	s_or_b32 exec_lo, exec_lo, s17
	s_and_saveexec_b32 s5, s16
	s_cbranch_execz .LBB6_52
.LBB6_339:
	s_waitcnt vmcnt(0) lgkmcnt(0)
	flat_store_dwordx2 v[18:19], v[28:29] offset:104
	s_or_b32 exec_lo, exec_lo, s5
	s_and_saveexec_b32 s5, s4
	s_cbranch_execnz .LBB6_53
	s_branch .LBB6_54
.LBB6_340:
	s_inst_prefetch 0x2
	s_or_b32 exec_lo, exec_lo, s8
	s_and_saveexec_b32 s8, s9
	s_xor_b32 s8, exec_lo, s8
	s_cbranch_execz .LBB6_342
; %bb.341:
	v_mov_b32_e32 v0, 1
	ds_write_b32 v0, v0
	s_trap 2
.LBB6_342:
	s_or_b32 exec_lo, exec_lo, s7
	;;#ASMSTART
	s_wakeup
	;;#ASMEND
.LBB6_343:
	s_or_b32 exec_lo, exec_lo, s6
.LBB6_344:
	s_andn2_saveexec_b32 s5, s5
	s_cbranch_execz .LBB6_346
; %bb.345:
	s_waitcnt lgkmcnt(0)
	s_waitcnt_vscnt null, 0x0
	buffer_gl1_inv
	buffer_gl0_inv
	s_barrier
.LBB6_346:
	s_or_b32 exec_lo, exec_lo, s4
	s_or_b32 exec_lo, exec_lo, s15
	s_waitcnt vmcnt(0) lgkmcnt(0)
	s_setpc_b64 s[30:31]
.Lfunc_end6:
	.size	_ZN12_GLOBAL__N_17runRingIa7FuncSumIaE7ProtoLLLi0ELi2ELi0EEEviiP15ncclDevWorkColl, .Lfunc_end6-_ZN12_GLOBAL__N_17runRingIa7FuncSumIaE7ProtoLLLi0ELi2ELi0EEEviiP15ncclDevWorkColl
                                        ; -- End function
	.set .L_ZN12_GLOBAL__N_17runRingIa7FuncSumIaE7ProtoLLLi0ELi2ELi0EEEviiP15ncclDevWorkColl.num_vgpr, 120
	.set .L_ZN12_GLOBAL__N_17runRingIa7FuncSumIaE7ProtoLLLi0ELi2ELi0EEEviiP15ncclDevWorkColl.num_agpr, 0
	.set .L_ZN12_GLOBAL__N_17runRingIa7FuncSumIaE7ProtoLLLi0ELi2ELi0EEEviiP15ncclDevWorkColl.numbered_sgpr, 44
	.set .L_ZN12_GLOBAL__N_17runRingIa7FuncSumIaE7ProtoLLLi0ELi2ELi0EEEviiP15ncclDevWorkColl.num_named_barrier, 0
	.set .L_ZN12_GLOBAL__N_17runRingIa7FuncSumIaE7ProtoLLLi0ELi2ELi0EEEviiP15ncclDevWorkColl.private_seg_size, 0
	.set .L_ZN12_GLOBAL__N_17runRingIa7FuncSumIaE7ProtoLLLi0ELi2ELi0EEEviiP15ncclDevWorkColl.uses_vcc, 1
	.set .L_ZN12_GLOBAL__N_17runRingIa7FuncSumIaE7ProtoLLLi0ELi2ELi0EEEviiP15ncclDevWorkColl.uses_flat_scratch, 1
	.set .L_ZN12_GLOBAL__N_17runRingIa7FuncSumIaE7ProtoLLLi0ELi2ELi0EEEviiP15ncclDevWorkColl.has_dyn_sized_stack, 0
	.set .L_ZN12_GLOBAL__N_17runRingIa7FuncSumIaE7ProtoLLLi0ELi2ELi0EEEviiP15ncclDevWorkColl.has_recursion, 0
	.set .L_ZN12_GLOBAL__N_17runRingIa7FuncSumIaE7ProtoLLLi0ELi2ELi0EEEviiP15ncclDevWorkColl.has_indirect_call, 0
	.section	.AMDGPU.csdata,"",@progbits
; Function info:
; codeLenInByte = 11908
; TotalNumSgprs: 46
; NumVgprs: 120
; ScratchSize: 0
; MemoryBound: 1
	.text
	.p2align	2                               ; -- Begin function _Z42ncclDevFunc_Broadcast_RING_LL_Sum_i8_0_0_2v
	.type	_Z42ncclDevFunc_Broadcast_RING_LL_Sum_i8_0_0_2v,@function
_Z42ncclDevFunc_Broadcast_RING_LL_Sum_i8_0_0_2v: ; @_Z42ncclDevFunc_Broadcast_RING_LL_Sum_i8_0_0_2v
; %bb.0:
	s_waitcnt vmcnt(0) expcnt(0) lgkmcnt(0)
	s_mov_b32 s57, s33
	s_mov_b32 s33, s32
	s_or_saveexec_b32 s4, -1
	buffer_store_dword v43, off, s[0:3], s33 offset:12 ; 4-byte Folded Spill
	s_mov_b32 exec_lo, s4
	s_addk_i32 s32, 0x400
	buffer_store_dword v40, off, s[0:3], s33 offset:8 ; 4-byte Folded Spill
	buffer_store_dword v41, off, s[0:3], s33 offset:4 ; 4-byte Folded Spill
	buffer_store_dword v42, off, s[0:3], s33 ; 4-byte Folded Spill
	v_writelane_b32 v43, s30, 0
	v_writelane_b32 v43, s31, 1
	s_trap 2
	ds_read_b32 v0, v0
	v_mov_b32_e32 v40, v31
	s_waitcnt lgkmcnt(0)
	v_cmp_gt_i32_e32 vcc_lo, 1, v0
	s_cbranch_vccnz .LBB7_8
; %bb.1:
	v_and_b32_e32 v41, 0x3ff, v40
	v_mov_b32_e32 v42, 5
	s_mov_b32 s46, s12
	s_mov_b64 s[44:45], s[8:9]
	s_mov_b32 s47, 0
	s_inst_prefetch 0x1
	s_branch .LBB7_3
	.p2align	6
.LBB7_2:                                ;   in Loop: Header=BB7_3 Depth=1
	s_or_b32 exec_lo, exec_lo, s56
	s_trap 2
	ds_read_b32 v0, v0
	s_add_i32 s47, s47, 1
	s_waitcnt lgkmcnt(0)
	v_cmp_lt_i32_e32 vcc_lo, s47, v0
	s_cbranch_vccz .LBB7_8
.LBB7_3:                                ; =>This Inner Loop Header: Depth=1
	s_trap 2
	ds_read_b32 v0, v0
	s_cmp_eq_u32 s47, 0
	s_cbranch_scc1 .LBB7_6
; %bb.4:                                ;   in Loop: Header=BB7_3 Depth=1
	s_trap 2
	s_waitcnt lgkmcnt(0)
	ds_read_b32 v1, v0
	s_waitcnt lgkmcnt(0)
	v_xor_b32_e32 v1, v1, v0
	v_and_b32_e32 v1, 0xff0000, v1
	v_cmp_eq_u32_e32 vcc_lo, 0, v1
	s_cbranch_vccnz .LBB7_6
; %bb.5:                                ;   in Loop: Header=BB7_3 Depth=1
	s_waitcnt_vscnt null, 0x0
	s_barrier
	buffer_gl0_inv
	ds_read_b32 v0, v0
.LBB7_6:                                ;   in Loop: Header=BB7_3 Depth=1
	s_waitcnt lgkmcnt(0)
	v_lshlrev_b32_sdwa v1, v42, v0 dst_sel:DWORD dst_unused:UNUSED_PAD src0_sel:DWORD src1_sel:BYTE_2
	s_mov_b32 s56, exec_lo
	v_cmpx_lt_u32_e64 v41, v1
	s_cbranch_execz .LBB7_2
; %bb.7:                                ;   in Loop: Header=BB7_3 Depth=1
	s_mov_b64 s[4:5], src_shared_base
	v_mov_b32_e32 v31, v40
	v_mov_b32_e32 v0, v41
	;; [unrolled: 1-line block ×3, first 2 shown]
	s_getpc_b64 s[6:7]
	s_add_u32 s6, s6, _ZN12_GLOBAL__N_17runRingIa7FuncSumIaE7ProtoLLLi0ELi2ELi0EEEviiP15ncclDevWorkColl@rel32@lo+4
	s_addc_u32 s7, s7, _ZN12_GLOBAL__N_17runRingIa7FuncSumIaE7ProtoLLLi0ELi2ELi0EEEviiP15ncclDevWorkColl@rel32@hi+12
	s_mov_b64 s[8:9], s[44:45]
	s_mov_b32 s12, s46
	s_swappc_b64 s[30:31], s[6:7]
	s_branch .LBB7_2
.LBB7_8:
	s_inst_prefetch 0x2
	s_clause 0x2
	buffer_load_dword v42, off, s[0:3], s33
	buffer_load_dword v41, off, s[0:3], s33 offset:4
	buffer_load_dword v40, off, s[0:3], s33 offset:8
	v_readlane_b32 s30, v43, 0
	v_readlane_b32 s31, v43, 1
	s_mov_b32 s32, s33
	s_or_saveexec_b32 s4, -1
	buffer_load_dword v43, off, s[0:3], s33 offset:12 ; 4-byte Folded Reload
	s_mov_b32 exec_lo, s4
	s_mov_b32 s33, s57
	s_waitcnt vmcnt(0)
	s_setpc_b64 s[30:31]
.Lfunc_end7:
	.size	_Z42ncclDevFunc_Broadcast_RING_LL_Sum_i8_0_0_2v, .Lfunc_end7-_Z42ncclDevFunc_Broadcast_RING_LL_Sum_i8_0_0_2v
                                        ; -- End function
	.set .L_Z42ncclDevFunc_Broadcast_RING_LL_Sum_i8_0_0_2v.num_vgpr, max(44, .L_ZN12_GLOBAL__N_17runRingIa7FuncSumIaE7ProtoLLLi0ELi2ELi0EEEviiP15ncclDevWorkColl.num_vgpr)
	.set .L_Z42ncclDevFunc_Broadcast_RING_LL_Sum_i8_0_0_2v.num_agpr, max(0, .L_ZN12_GLOBAL__N_17runRingIa7FuncSumIaE7ProtoLLLi0ELi2ELi0EEEviiP15ncclDevWorkColl.num_agpr)
	.set .L_Z42ncclDevFunc_Broadcast_RING_LL_Sum_i8_0_0_2v.numbered_sgpr, max(58, .L_ZN12_GLOBAL__N_17runRingIa7FuncSumIaE7ProtoLLLi0ELi2ELi0EEEviiP15ncclDevWorkColl.numbered_sgpr)
	.set .L_Z42ncclDevFunc_Broadcast_RING_LL_Sum_i8_0_0_2v.num_named_barrier, max(0, .L_ZN12_GLOBAL__N_17runRingIa7FuncSumIaE7ProtoLLLi0ELi2ELi0EEEviiP15ncclDevWorkColl.num_named_barrier)
	.set .L_Z42ncclDevFunc_Broadcast_RING_LL_Sum_i8_0_0_2v.private_seg_size, 32+max(.L_ZN12_GLOBAL__N_17runRingIa7FuncSumIaE7ProtoLLLi0ELi2ELi0EEEviiP15ncclDevWorkColl.private_seg_size)
	.set .L_Z42ncclDevFunc_Broadcast_RING_LL_Sum_i8_0_0_2v.uses_vcc, or(1, .L_ZN12_GLOBAL__N_17runRingIa7FuncSumIaE7ProtoLLLi0ELi2ELi0EEEviiP15ncclDevWorkColl.uses_vcc)
	.set .L_Z42ncclDevFunc_Broadcast_RING_LL_Sum_i8_0_0_2v.uses_flat_scratch, or(0, .L_ZN12_GLOBAL__N_17runRingIa7FuncSumIaE7ProtoLLLi0ELi2ELi0EEEviiP15ncclDevWorkColl.uses_flat_scratch)
	.set .L_Z42ncclDevFunc_Broadcast_RING_LL_Sum_i8_0_0_2v.has_dyn_sized_stack, or(0, .L_ZN12_GLOBAL__N_17runRingIa7FuncSumIaE7ProtoLLLi0ELi2ELi0EEEviiP15ncclDevWorkColl.has_dyn_sized_stack)
	.set .L_Z42ncclDevFunc_Broadcast_RING_LL_Sum_i8_0_0_2v.has_recursion, or(1, .L_ZN12_GLOBAL__N_17runRingIa7FuncSumIaE7ProtoLLLi0ELi2ELi0EEEviiP15ncclDevWorkColl.has_recursion)
	.set .L_Z42ncclDevFunc_Broadcast_RING_LL_Sum_i8_0_0_2v.has_indirect_call, or(0, .L_ZN12_GLOBAL__N_17runRingIa7FuncSumIaE7ProtoLLLi0ELi2ELi0EEEviiP15ncclDevWorkColl.has_indirect_call)
	.section	.AMDGPU.csdata,"",@progbits
; Function info:
; codeLenInByte = 468
; TotalNumSgprs: 60
; NumVgprs: 120
; ScratchSize: 32
; MemoryBound: 0
	.text
	.p2align	2                               ; -- Begin function _ZN12_GLOBAL__N_17runRingIa7FuncSumIaE11ProtoSimpleILi1ELi1ELi0ELi2ELi0ELi0EELi0ELi2ELi0EEEviiP15ncclDevWorkColl
	.type	_ZN12_GLOBAL__N_17runRingIa7FuncSumIaE11ProtoSimpleILi1ELi1ELi0ELi2ELi0ELi0EELi0ELi2ELi0EEEviiP15ncclDevWorkColl,@function
_ZN12_GLOBAL__N_17runRingIa7FuncSumIaE11ProtoSimpleILi1ELi1ELi0ELi2ELi0ELi0EELi0ELi2ELi0EEEviiP15ncclDevWorkColl: ; @_ZN12_GLOBAL__N_17runRingIa7FuncSumIaE11ProtoSimpleILi1ELi1ELi0ELi2ELi0ELi0EELi0ELi2ELi0EEEviiP15ncclDevWorkColl
; %bb.0:
	s_waitcnt vmcnt(0) expcnt(0) lgkmcnt(0)
	s_mov_b32 s72, s33
	s_mov_b32 s33, s32
	s_or_saveexec_b32 s4, -1
	buffer_store_dword v90, off, s[0:3], s33 offset:104 ; 4-byte Folded Spill
	s_mov_b32 exec_lo, s4
	s_addk_i32 s32, 0xe00
	buffer_store_dword v40, off, s[0:3], s33 offset:100 ; 4-byte Folded Spill
	buffer_store_dword v41, off, s[0:3], s33 offset:96 ; 4-byte Folded Spill
	buffer_store_dword v42, off, s[0:3], s33 offset:92 ; 4-byte Folded Spill
	buffer_store_dword v43, off, s[0:3], s33 offset:88 ; 4-byte Folded Spill
	buffer_store_dword v44, off, s[0:3], s33 offset:84 ; 4-byte Folded Spill
	buffer_store_dword v45, off, s[0:3], s33 offset:80 ; 4-byte Folded Spill
	buffer_store_dword v46, off, s[0:3], s33 offset:76 ; 4-byte Folded Spill
	buffer_store_dword v47, off, s[0:3], s33 offset:72 ; 4-byte Folded Spill
	buffer_store_dword v56, off, s[0:3], s33 offset:68 ; 4-byte Folded Spill
	buffer_store_dword v57, off, s[0:3], s33 offset:64 ; 4-byte Folded Spill
	buffer_store_dword v58, off, s[0:3], s33 offset:60 ; 4-byte Folded Spill
	buffer_store_dword v59, off, s[0:3], s33 offset:56 ; 4-byte Folded Spill
	buffer_store_dword v60, off, s[0:3], s33 offset:52 ; 4-byte Folded Spill
	buffer_store_dword v61, off, s[0:3], s33 offset:48 ; 4-byte Folded Spill
	buffer_store_dword v62, off, s[0:3], s33 offset:44 ; 4-byte Folded Spill
	buffer_store_dword v63, off, s[0:3], s33 offset:40 ; 4-byte Folded Spill
	buffer_store_dword v72, off, s[0:3], s33 offset:36 ; 4-byte Folded Spill
	buffer_store_dword v73, off, s[0:3], s33 offset:32 ; 4-byte Folded Spill
	buffer_store_dword v74, off, s[0:3], s33 offset:28 ; 4-byte Folded Spill
	buffer_store_dword v75, off, s[0:3], s33 offset:24 ; 4-byte Folded Spill
	buffer_store_dword v76, off, s[0:3], s33 offset:20 ; 4-byte Folded Spill
	buffer_store_dword v77, off, s[0:3], s33 offset:16 ; 4-byte Folded Spill
	buffer_store_dword v78, off, s[0:3], s33 offset:12 ; 4-byte Folded Spill
	buffer_store_dword v79, off, s[0:3], s33 offset:8 ; 4-byte Folded Spill
	buffer_store_dword v88, off, s[0:3], s33 offset:4 ; 4-byte Folded Spill
	buffer_store_dword v89, off, s[0:3], s33 ; 4-byte Folded Spill
	v_writelane_b32 v90, s30, 0
	v_writelane_b32 v90, s31, 1
	s_trap 2
	ds_read_b64 v[4:5], v0
	s_clause 0x1
	flat_load_dwordx2 v[16:17], v[2:3]
	flat_load_ushort v9, v[2:3] offset:8
	ds_read_b32 v6, v0
                                        ; implicit-def: $vgpr34_vgpr35
                                        ; implicit-def: $vgpr14_vgpr15
	s_waitcnt lgkmcnt(3)
	flat_load_dwordx2 v[32:33], v[4:5]
                                        ; implicit-def: $vgpr4_vgpr5
	s_waitcnt vmcnt(2) lgkmcnt(3)
	v_mov_b32_e32 v8, v17
	s_waitcnt lgkmcnt(1)
	v_cmp_ne_u32_sdwa s4, v6, v16 src0_sel:DWORD src1_sel:BYTE_0
	s_and_saveexec_b32 s5, s4
	s_xor_b32 s4, exec_lo, s5
	s_cbranch_execz .LBB8_6
; %bb.1:
	v_not_b32_sdwa v10, v16 dst_sel:DWORD dst_unused:UNUSED_PAD src0_sel:BYTE_0
	v_cmp_ne_u32_sdwa s5, v6, v16 src0_sel:DWORD src1_sel:BYTE_1
                                        ; implicit-def: $vgpr34_vgpr35
                                        ; implicit-def: $vgpr4_vgpr5
                                        ; implicit-def: $vgpr14_vgpr15
	s_and_saveexec_b32 s6, s5
	s_xor_b32 s5, exec_lo, s6
	s_cbranch_execz .LBB8_3
; %bb.2:
	s_clause 0x1
	flat_load_dwordx4 v[17:20], v[2:3] offset:72
	flat_load_dwordx2 v[4:5], v[2:3] offset:96
	v_add_nc_u32_e32 v6, v6, v10
                                        ; implicit-def: $vgpr10
	v_ashrrev_i32_e32 v7, 31, v6
	s_waitcnt vmcnt(1) lgkmcnt(1)
	v_mul_lo_u32 v7, v19, v7
	v_mad_u64_u32 v[14:15], null, v19, v6, v[17:18]
	v_mul_lo_u32 v6, v20, v6
	s_waitcnt vmcnt(0) lgkmcnt(0)
	v_lshrrev_b64 v[34:35], 21, v[4:5]
	v_mov_b32_e32 v4, v19
	v_mov_b32_e32 v5, v20
	v_add3_u32 v15, v6, v15, v7
.LBB8_3:
	s_andn2_saveexec_b32 s5, s5
	s_cbranch_execz .LBB8_5
; %bb.4:
	s_clause 0x1
	flat_load_dwordx4 v[17:20], v[2:3] offset:72
	flat_load_dwordx4 v[4:7], v[2:3] offset:88
	s_waitcnt vmcnt(0) lgkmcnt(0)
	v_add_nc_u32_sdwa v6, v16, v10 dst_sel:DWORD dst_unused:UNUSED_PAD src0_sel:BYTE_1 src1_sel:DWORD
	v_ashrrev_i32_e32 v10, 31, v6
	v_mul_lo_u32 v10, v19, v10
	v_mad_u64_u32 v[14:15], null, v19, v6, v[17:18]
	v_mul_lo_u32 v6, v20, v6
	v_lshrrev_b32_e32 v34, 10, v7
	v_add3_u32 v15, v6, v15, v10
.LBB8_5:
	s_or_b32 exec_lo, exec_lo, s5
.LBB8_6:
	s_andn2_saveexec_b32 s4, s4
	s_cbranch_execz .LBB8_8
; %bb.7:
	s_clause 0x1
	flat_load_dwordx2 v[4:5], v[2:3] offset:72
	flat_load_dwordx2 v[34:35], v[2:3] offset:96
	v_mov_b32_e32 v14, 0
	v_mov_b32_e32 v15, 0
.LBB8_8:
	s_or_b32 exec_lo, exec_lo, s4
	flat_load_dwordx4 v[10:13], v[2:3] offset:16
	v_and_b32_e32 v6, 0x44000000, v16
	v_bfe_u32 v38, v8, 1, 30
	s_mov_b32 s4, exec_lo
	v_cmp_eq_u32_e64 s13, 0x44000000, v6
	v_cndmask_b32_e64 v30, v1, 32, s13
	v_cmpx_ge_i32_e64 v0, v30
	s_xor_b32 s5, exec_lo, s4
	s_cbranch_execz .LBB8_38
; %bb.9:
	s_waitcnt vmcnt(0) lgkmcnt(0)
	v_cmp_ne_u64_e32 vcc_lo, v[12:13], v[10:11]
	v_cmp_eq_u32_e64 s4, v32, v38
	s_and_b32 s4, vcc_lo, s4
	s_and_saveexec_b32 s6, s4
	s_cbranch_execz .LBB8_37
; %bb.10:
	v_sub_nc_u32_e32 v16, v0, v30
	v_add_co_u32 v2, vcc_lo, v12, v14
	v_add_co_ci_u32_e64 v3, null, v13, v15, vcc_lo
	v_ashrrev_i16 v0, 15, v16
	v_add_co_u32 v8, vcc_lo, v10, v14
	v_add_co_ci_u32_e64 v18, null, v11, v15, vcc_lo
	v_lshrrev_b16 v0, 11, v0
	s_mov_b32 s4, 0
	s_mov_b32 s7, exec_lo
	v_add_nc_u16 v0, v16, v0
	v_and_b32_e32 v6, 0xffffffe0, v0
	v_sub_nc_u16 v17, v16, v6
	v_cmpx_gt_i16_e32 1, v17
; %bb.11:
	v_or_b32_e32 v6, v2, v8
	v_and_b32_e32 v6, 15, v6
	v_cmp_ne_u32_e32 vcc_lo, 0, v6
	s_and_b32 s4, vcc_lo, exec_lo
; %bb.12:
	s_or_b32 exec_lo, exec_lo, s7
	v_cndmask_b32_e64 v6, 0, 1, s4
	v_sub_nc_u32_e32 v9, v1, v30
	v_cmp_ne_u32_e32 vcc_lo, 0, v6
	s_cbranch_vccz .LBB8_14
; %bb.13:
	v_mov_b32_e32 v0, 0
	v_mov_b32_e32 v1, 0
	s_mov_b32 s4, -1
	s_and_b32 exec_lo, exec_lo, s4
	s_cbranch_execnz .LBB8_29
	s_branch .LBB8_37
.LBB8_14:
	v_ashrrev_i32_e32 v1, 31, v5
	v_ashrrev_i16 v6, 5, v0
	s_mov_b32 s10, 0
	s_mov_b32 s7, exec_lo
	v_lshrrev_b32_e32 v1, 21, v1
	v_bfe_i32 v16, v6, 0, 16
	v_add_co_u32 v0, vcc_lo, v4, v1
	v_add_co_ci_u32_e64 v1, null, 0, v5, vcc_lo
	v_ashrrev_i32_e32 v7, 31, v16
	v_ashrrev_i64 v[0:1], 11, v[0:1]
	v_sub_co_u32 v6, vcc_lo, v0, v16
	v_sub_co_ci_u32_e64 v7, null, v1, v7, vcc_lo
	v_cmpx_lt_i64_e32 0, v[6:7]
	s_cbranch_execz .LBB8_18
; %bb.15:
	v_ashrrev_i16 v19, 15, v9
	v_mov_b32_e32 v20, 4
	v_mov_b32_e32 v22, 11
	v_lshrrev_b16 v19, 11, v19
	v_lshlrev_b32_sdwa v20, v20, sext(v17) dst_sel:DWORD dst_unused:UNUSED_PAD src0_sel:DWORD src1_sel:WORD_0
	v_add_nc_u16 v19, v9, v19
	v_lshl_add_u32 v16, v16, 11, v20
	v_ashrrev_i16 v21, 5, v19
	v_bfe_i32 v19, v21, 0, 16
	v_lshlrev_b32_sdwa v20, v22, sext(v21) dst_sel:DWORD dst_unused:UNUSED_PAD src0_sel:DWORD src1_sel:WORD_0
	v_ashrrev_i32_e32 v21, 31, v16
	v_ashrrev_i32_e32 v22, 31, v19
	;; [unrolled: 1-line block ×3, first 2 shown]
	s_inst_prefetch 0x1
	.p2align	6
.LBB8_16:                               ; =>This Inner Loop Header: Depth=1
	v_add_co_u32 v36, vcc_lo, v16, v2
	v_add_co_ci_u32_e64 v37, null, v21, v3, vcc_lo
	v_add_co_u32 v48, vcc_lo, v16, v8
	v_add_co_ci_u32_e64 v49, null, v21, v18, vcc_lo
	s_clause 0x3
	global_load_dwordx4 v[24:27], v[36:37], off slc
	global_load_dwordx4 v[28:31], v[36:37], off offset:512 slc
	global_load_dwordx4 v[32:35], v[36:37], off offset:1024 slc
	;; [unrolled: 1-line block ×3, first 2 shown]
	v_sub_co_u32 v6, vcc_lo, v6, v19
	v_sub_co_ci_u32_e64 v7, null, v7, v22, vcc_lo
	v_add_co_u32 v2, vcc_lo, v2, v20
	v_add_co_ci_u32_e64 v3, null, v3, v23, vcc_lo
	v_cmp_gt_i64_e32 vcc_lo, 1, v[6:7]
	v_add_co_u32 v8, s4, v8, v20
	v_add_co_ci_u32_e64 v18, null, v18, v23, s4
	s_waitcnt vmcnt(3)
	global_store_dwordx4 v[48:49], v[24:27], off glc slc
	s_waitcnt vmcnt(2)
	global_store_dwordx4 v[48:49], v[28:31], off offset:512 glc slc
	s_waitcnt vmcnt(1)
	global_store_dwordx4 v[48:49], v[32:35], off offset:1024 glc slc
	s_waitcnt vmcnt(0)
	global_store_dwordx4 v[48:49], v[36:39], off offset:1536 glc slc
	s_or_b32 s10, vcc_lo, s10
	s_andn2_b32 exec_lo, exec_lo, s10
	s_cbranch_execnz .LBB8_16
; %bb.17:
	s_inst_prefetch 0x2
	s_or_b32 exec_lo, exec_lo, s10
.LBB8_18:
	s_or_b32 exec_lo, exec_lo, s7
	v_lshlrev_b64 v[7:8], 11, v[0:1]
	v_mov_b32_e32 v0, 0
	v_mov_b32_e32 v1, 0
	s_mov_b32 s4, 0
	s_mov_b32 s7, exec_lo
                                        ; implicit-def: $vgpr2_vgpr3
                                        ; implicit-def: $vgpr16
	v_cmpx_ne_u64_e64 v[4:5], v[7:8]
	s_cbranch_execz .LBB8_28
; %bb.19:
	v_sub_co_u32 v16, vcc_lo, v4, v7
	v_sub_co_ci_u32_e64 v20, null, v5, v8, vcc_lo
	v_mov_b32_e32 v5, 0
	v_ashrrev_i32_e32 v0, 31, v20
	v_lshrrev_b32_e32 v0, 23, v0
	v_add_co_u32 v0, vcc_lo, v16, v0
	v_add_co_ci_u32_e64 v1, null, 0, v20, vcc_lo
	v_and_b32_e32 v21, 0xfffffe00, v0
	v_ashrrev_i64 v[18:19], 9, v[0:1]
	v_sub_co_u32 v2, vcc_lo, v16, v21
	v_add_co_u32 v0, s4, v21, v7
	v_sub_co_ci_u32_e64 v3, null, v20, v1, vcc_lo
	v_add_co_ci_u32_e64 v1, null, v1, v8, s4
	s_mov_b32 s4, exec_lo
	v_cmpx_lt_i64_e32 15, v[2:3]
	s_cbranch_execz .LBB8_21
; %bb.20:
	v_and_b32_e32 v4, 15, v4
	v_sub_co_u32 v2, vcc_lo, v2, v4
	v_subrev_co_ci_u32_e64 v3, null, 0, v3, vcc_lo
	v_add_co_u32 v18, vcc_lo, v18, 1
	v_add_co_ci_u32_e64 v19, null, 0, v19, vcc_lo
	v_add_co_u32 v0, vcc_lo, v2, v0
	v_add_co_ci_u32_e64 v1, null, v3, v1, vcc_lo
	v_mov_b32_e32 v2, v4
	v_mov_b32_e32 v3, v5
.LBB8_21:
	s_or_b32 exec_lo, exec_lo, s4
	v_lshlrev_b32_e32 v4, 5, v6
	s_mov_b32 s10, exec_lo
	v_sub_nc_u32_sdwa v4, sext(v17), v4 dst_sel:DWORD dst_unused:UNUSED_PAD src0_sel:WORD_0 src1_sel:DWORD
	v_ashrrev_i32_e32 v5, 31, v4
	v_lshrrev_b32_e32 v5, 27, v5
	v_add_nc_u32_e32 v5, v4, v5
	v_and_b32_e32 v6, 0xffffffe0, v5
	v_sub_nc_u32_e32 v6, v4, v6
	v_ashrrev_i32_e32 v4, 5, v5
	v_lshlrev_b32_e32 v5, 4, v6
	v_lshl_add_u32 v21, v4, 9, v5
	v_ashrrev_i32_e32 v5, 31, v4
	v_sub_co_u32 v4, s4, v18, v4
	v_ashrrev_i32_e32 v22, 31, v21
	v_sub_co_u32 v16, vcc_lo, v16, v21
	v_sub_co_ci_u32_e64 v5, null, v19, v5, s4
	v_sub_co_ci_u32_e64 v17, null, v20, v22, vcc_lo
	v_cmpx_lt_i64_e32 15, v[16:17]
	s_cbranch_execz .LBB8_25
; %bb.22:
	v_ashrrev_i16 v18, 15, v9
	v_mov_b32_e32 v20, 9
	s_mov_b32 s11, 0
	v_lshrrev_b16 v18, 11, v18
	v_add_nc_u16 v18, v9, v18
	v_ashrrev_i16 v19, 5, v18
	v_bfe_i32 v18, v19, 0, 16
	v_lshlrev_b32_sdwa v19, v20, sext(v19) dst_sel:DWORD dst_unused:UNUSED_PAD src0_sel:DWORD src1_sel:WORD_0
	v_add_co_u32 v20, vcc_lo, v14, v7
	v_add_co_ci_u32_e64 v23, null, v15, v8, vcc_lo
	v_ashrrev_i32_e32 v7, 31, v19
	v_add_co_u32 v20, vcc_lo, v20, v21
	v_ashrrev_i32_e32 v8, 31, v18
	v_add_co_ci_u32_e64 v21, null, v23, v22, vcc_lo
	.p2align	6
.LBB8_23:                               ; =>This Inner Loop Header: Depth=1
	v_add_co_u32 v22, vcc_lo, v12, v20
	v_add_co_ci_u32_e64 v23, null, v13, v21, vcc_lo
	v_add_co_u32 v26, vcc_lo, v10, v20
	v_add_co_ci_u32_e64 v27, null, v11, v21, vcc_lo
	global_load_dwordx4 v[22:25], v[22:23], off slc
	v_sub_co_u32 v16, vcc_lo, v16, v19
	v_sub_co_ci_u32_e64 v17, null, v17, v7, vcc_lo
	v_sub_co_u32 v4, vcc_lo, v4, v18
	v_sub_co_ci_u32_e64 v5, null, v5, v8, vcc_lo
	v_cmp_gt_i64_e32 vcc_lo, 16, v[16:17]
	v_add_co_u32 v20, s4, v20, v19
	v_add_co_ci_u32_e64 v21, null, v21, v7, s4
	s_or_b32 s11, vcc_lo, s11
	s_waitcnt vmcnt(0)
	global_store_dwordx4 v[26:27], v[22:25], off glc slc
	s_andn2_b32 exec_lo, exec_lo, s11
	s_cbranch_execnz .LBB8_23
; %bb.24:
	s_or_b32 exec_lo, exec_lo, s11
.LBB8_25:
	s_or_b32 exec_lo, exec_lo, s10
	s_mov_b32 s4, exec_lo
	v_cmpx_lt_i64_e32 0, v[4:5]
	s_cbranch_execz .LBB8_27
; %bb.26:
	v_ashrrev_i16 v7, 15, v9
	v_lshrrev_b16 v7, 11, v7
	v_add_nc_u16 v7, v9, v7
	v_ashrrev_i16 v7, 5, v7
	v_bfe_i32 v7, v7, 0, 16
	v_ashrrev_i32_e32 v8, 31, v7
	v_sub_co_u32 v4, vcc_lo, v4, v7
	v_sub_co_ci_u32_e64 v5, null, v5, v8, vcc_lo
.LBB8_27:
	s_or_b32 exec_lo, exec_lo, s4
	v_lshlrev_b32_e32 v4, 5, v4
	v_cmp_ne_u64_e32 vcc_lo, 0, v[2:3]
	v_sub_nc_u32_e32 v16, v6, v4
	s_and_b32 s4, vcc_lo, exec_lo
.LBB8_28:
	s_or_b32 exec_lo, exec_lo, s7
	v_mov_b32_e32 v5, v3
	v_mov_b32_e32 v4, v2
	s_and_b32 exec_lo, exec_lo, s4
	s_cbranch_execz .LBB8_37
.LBB8_29:
	v_ashrrev_i32_e32 v2, 31, v16
	v_ashrrev_i32_e32 v3, 31, v5
	s_mov_b32 s4, exec_lo
	v_lshrrev_b32_e32 v2, 27, v2
	v_lshrrev_b32_e32 v3, 23, v3
	v_add_nc_u32_e32 v17, v16, v2
	v_add_co_u32 v2, vcc_lo, v4, v3
	v_add_co_ci_u32_e64 v3, null, 0, v5, vcc_lo
	v_ashrrev_i32_e32 v8, 5, v17
	v_ashrrev_i64 v[6:7], 9, v[2:3]
	v_ashrrev_i32_e32 v3, 31, v8
	v_sub_co_u32 v2, vcc_lo, v6, v8
	v_sub_co_ci_u32_e64 v3, null, v7, v3, vcc_lo
	v_cmpx_lt_i64_e32 0, v[2:3]
	s_cbranch_execz .LBB8_33
; %bb.30:
	v_ashrrev_i16 v18, 15, v9
	v_and_b32_e32 v17, 0xffffffe0, v17
	v_mov_b32_e32 v19, 9
	v_add_co_u32 v25, vcc_lo, v14, v0
	v_lshrrev_b16 v18, 11, v18
	v_sub_nc_u32_e32 v17, v16, v17
	v_add_co_ci_u32_e64 v26, null, v15, v1, vcc_lo
	s_mov_b32 s7, 0
	v_add_nc_u16 v18, v9, v18
	v_lshl_add_u32 v17, v8, 9, v17
	v_ashrrev_i16 v20, 5, v18
	v_ashrrev_i32_e32 v22, 31, v17
	v_bfe_i32 v18, v20, 0, 16
	v_lshlrev_b32_sdwa v19, v19, sext(v20) dst_sel:DWORD dst_unused:UNUSED_PAD src0_sel:DWORD src1_sel:WORD_0
	v_add_co_u32 v20, vcc_lo, v25, v12
	v_add_co_ci_u32_e64 v21, null, v26, v13, vcc_lo
	v_add_co_u32 v25, vcc_lo, v25, v10
	v_ashrrev_i32_e32 v23, 31, v18
	v_ashrrev_i32_e32 v24, 31, v19
	v_add_co_ci_u32_e64 v26, null, v26, v11, vcc_lo
.LBB8_31:                               ; =>This Inner Loop Header: Depth=1
	v_add_co_u32 v27, vcc_lo, v17, v20
	v_add_co_ci_u32_e64 v28, null, v22, v21, vcc_lo
	s_clause 0xf
	flat_load_ubyte v29, v[27:28] slc
	flat_load_ubyte v30, v[27:28] offset:32 slc
	flat_load_ubyte v31, v[27:28] offset:64 slc
	;; [unrolled: 1-line block ×15, first 2 shown]
	v_add_co_u32 v27, vcc_lo, v17, v25
	v_add_co_ci_u32_e64 v28, null, v22, v26, vcc_lo
	v_sub_co_u32 v2, vcc_lo, v2, v18
	v_sub_co_ci_u32_e64 v3, null, v3, v23, vcc_lo
	v_add_co_u32 v20, vcc_lo, v20, v19
	v_add_co_ci_u32_e64 v21, null, v21, v24, vcc_lo
	v_add_co_u32 v25, vcc_lo, v25, v19
	v_add_co_ci_u32_e64 v26, null, v26, v24, vcc_lo
	v_cmp_gt_i64_e32 vcc_lo, 1, v[2:3]
	s_waitcnt vmcnt(15) lgkmcnt(15)
	flat_store_byte v[27:28], v29 glc slc
	s_waitcnt vmcnt(14) lgkmcnt(15)
	flat_store_byte v[27:28], v30 offset:32 glc slc
	s_waitcnt vmcnt(13) lgkmcnt(15)
	flat_store_byte v[27:28], v31 offset:64 glc slc
	;; [unrolled: 2-line block ×15, first 2 shown]
	s_or_b32 s7, vcc_lo, s7
	s_andn2_b32 exec_lo, exec_lo, s7
	s_cbranch_execnz .LBB8_31
; %bb.32:
	s_or_b32 exec_lo, exec_lo, s7
.LBB8_33:
	s_or_b32 exec_lo, exec_lo, s4
	v_lshlrev_b64 v[6:7], 9, v[6:7]
	v_cmp_ne_u64_e32 vcc_lo, v[4:5], v[6:7]
	s_and_b32 exec_lo, exec_lo, vcc_lo
	s_cbranch_execz .LBB8_37
; %bb.34:
	v_lshlrev_b32_e32 v3, 5, v8
	v_lshlrev_b32_e32 v2, 5, v2
	v_sub_nc_u32_e32 v3, v16, v3
	v_sub_nc_u32_e32 v8, v3, v2
	v_ashrrev_i32_e32 v16, 31, v8
	v_add_co_u32 v2, vcc_lo, v6, v8
	v_add_co_ci_u32_e64 v3, null, v7, v16, vcc_lo
	v_sub_co_u32 v2, vcc_lo, v4, v2
	v_sub_co_ci_u32_e64 v3, null, v5, v3, vcc_lo
	v_cmp_lt_i64_e32 vcc_lo, 0, v[2:3]
	s_and_b32 exec_lo, exec_lo, vcc_lo
	s_cbranch_execz .LBB8_37
; %bb.35:
	v_ashrrev_i16 v4, 15, v9
	v_mov_b32_e32 v5, 5
	s_mov_b32 s7, 0
	v_lshrrev_b16 v4, 11, v4
	v_add_nc_u16 v4, v9, v4
	v_add_co_u32 v9, vcc_lo, v14, v0
	v_add_co_ci_u32_e64 v1, null, v15, v1, vcc_lo
	v_ashrrev_i16 v4, 5, v4
	v_lshlrev_b32_sdwa v0, v5, sext(v4) dst_sel:DWORD dst_unused:UNUSED_PAD src0_sel:DWORD src1_sel:WORD_0
	v_add_co_u32 v4, vcc_lo, v9, v6
	v_add_co_ci_u32_e64 v5, null, v1, v7, vcc_lo
	v_ashrrev_i32_e32 v1, 31, v0
	v_add_co_u32 v4, vcc_lo, v4, v8
	v_add_co_ci_u32_e64 v5, null, v5, v16, vcc_lo
	.p2align	6
.LBB8_36:                               ; =>This Inner Loop Header: Depth=1
	v_add_co_u32 v6, vcc_lo, v12, v4
	v_add_co_ci_u32_e64 v7, null, v13, v5, vcc_lo
	v_sub_co_u32 v2, vcc_lo, v2, v0
	v_sub_co_ci_u32_e64 v3, null, v3, v1, vcc_lo
	flat_load_ubyte v8, v[6:7] slc
	v_add_co_u32 v6, vcc_lo, v10, v4
	v_add_co_ci_u32_e64 v7, null, v11, v5, vcc_lo
	v_cmp_gt_i64_e32 vcc_lo, 1, v[2:3]
	v_add_co_u32 v4, s4, v4, v0
	v_add_co_ci_u32_e64 v5, null, v5, v1, s4
	s_or_b32 s7, vcc_lo, s7
	s_waitcnt vmcnt(0) lgkmcnt(0)
	flat_store_byte v[6:7], v8 glc slc
	s_andn2_b32 exec_lo, exec_lo, s7
	s_cbranch_execnz .LBB8_36
.LBB8_37:
	s_or_b32 exec_lo, exec_lo, s6
                                        ; implicit-def: $vgpr32_vgpr33
                                        ; implicit-def: $vgpr14_vgpr15
                                        ; implicit-def: $vgpr4_vgpr5
                                        ; implicit-def: $vgpr34_vgpr35
                                        ; implicit-def: $vgpr38
                                        ; implicit-def: $vgpr30
                                        ; implicit-def: $vgpr0
                                        ; implicit-def: $vgpr31
                                        ; implicit-def: $vgpr12_vgpr13
                                        ; implicit-def: $vgpr8_vgpr9
                                        ; implicit-def: $vgpr2_vgpr3
.LBB8_38:
	s_andn2_saveexec_b32 s25, s5
	s_cbranch_execz .LBB8_1037
; %bb.39:
	s_trap 2
	ds_read_b64 v[6:7], v0
	s_mov_b32 s5, exec_lo
	s_waitcnt lgkmcnt(0)
	v_cmp_ne_u32_e32 vcc_lo, -1, v6
	v_cndmask_b32_e64 v37, 0, 1, vcc_lo
	v_cmp_ne_u32_e32 vcc_lo, -1, v7
	v_add_co_ci_u32_e64 v1, null, 0, v37, vcc_lo
	v_lshlrev_b32_e32 v6, 1, v1
	v_cmpx_le_u32_e64 v6, v30
	s_xor_b32 s24, exec_lo, s5
	s_cbranch_execz .LBB8_1034
; %bb.40:
	flat_load_dwordx2 v[24:25], v[2:3] offset:104
	s_trap 2
	s_load_dword s4, s[8:9], 0x0
	v_mov_b32_e32 v6, 0
	v_mov_b32_e32 v52, 4
	s_waitcnt lgkmcnt(0)
	s_cmp_lt_u32 s12, s4
	s_cselect_b32 s4, 12, 18
	s_add_u32 s4, s8, s4
	s_addc_u32 s5, s9, 0
	global_load_ushort v39, v6, s[4:5]
	ds_read_b32 v6, v0
	s_mov_b32 s5, exec_lo
	s_waitcnt lgkmcnt(0)
	v_readfirstlane_b32 s12, v6
	v_cmpx_ge_i32_e64 v0, v37
	s_cbranch_execz .LBB8_50
; %bb.41:
	v_cmp_ge_u32_e64 s4, v0, v1
                                        ; implicit-def: $vgpr52
	s_and_saveexec_b32 s6, s4
	s_xor_b32 s4, exec_lo, s6
	s_cbranch_execz .LBB8_47
; %bb.42:
	v_cndmask_b32_e64 v6, 0, 1, vcc_lo
	s_mov_b32 s6, exec_lo
	v_sub_nc_u32_e32 v6, v30, v6
	v_cmpx_ge_u32_e64 v0, v6
	s_xor_b32 s6, exec_lo, s6
; %bb.43:
                                        ; implicit-def: $vgpr1
; %bb.44:
	s_or_saveexec_b32 s6, s6
	v_mov_b32_e32 v52, 16
	s_xor_b32 exec_lo, exec_lo, s6
; %bb.45:
	v_sub_nc_u32_e32 v1, v30, v1
	v_cmp_lt_i32_e32 vcc_lo, v0, v1
	v_cndmask_b32_e64 v52, 32, 0, vcc_lo
; %bb.46:
	s_or_b32 exec_lo, exec_lo, s6
.LBB8_47:
	s_andn2_saveexec_b32 s4, s4
; %bb.48:
	v_mov_b32_e32 v52, 8
; %bb.49:
	s_or_b32 exec_lo, exec_lo, s4
.LBB8_50:
	s_or_b32 exec_lo, exec_lo, s5
	v_and_b32_e32 v1, 36, v52
	s_waitcnt vmcnt(3)
	v_mov_b32_e32 v35, -1
	v_cmp_ne_u32_e32 vcc_lo, 0, v1
	s_and_saveexec_b32 s4, vcc_lo
	s_cbranch_execz .LBB8_52
; %bb.51:
	s_trap 2
	ds_read_b32 v35, v0
.LBB8_52:
	s_or_b32 exec_lo, exec_lo, s4
	v_and_b32_e32 v1, 24, v52
	s_mov_b32 s5, exec_lo
	v_cmpx_ne_u32_e32 0, v1
	s_cbranch_execz .LBB8_54
; %bb.53:
	s_trap 2
	s_waitcnt lgkmcnt(0)
	ds_read_b32 v35, v0
.LBB8_54:
	s_or_b32 exec_lo, exec_lo, s5
	v_lshrrev_b64 v[8:9], 31, v[8:9]
	v_mov_b32_e32 v18, 0
	v_mov_b32_e32 v6, 0
	;; [unrolled: 1-line block ×4, first 2 shown]
                                        ; implicit-def: $vgpr16_vgpr17
                                        ; implicit-def: $vgpr53
                                        ; implicit-def: $vgpr22_vgpr23
                                        ; implicit-def: $vgpr28_vgpr29
                                        ; implicit-def: $vgpr20_vgpr21
	v_and_b32_e32 v1, 3, v8
	s_and_saveexec_b32 s4, vcc_lo
	s_cbranch_execz .LBB8_64
; %bb.55:
	s_trap 2
	ds_read_b64 v[6:7], v0
	s_waitcnt lgkmcnt(1)
	v_ashrrev_i32_e32 v36, 31, v35
	s_mov_b32 s5, exec_lo
                                        ; implicit-def: $vgpr16_vgpr17
	v_lshlrev_b64 v[8:9], 3, v[35:36]
	s_waitcnt lgkmcnt(0)
	v_add_co_u32 v6, vcc_lo, v6, v8
	v_add_co_ci_u32_e64 v7, null, v7, v9, vcc_lo
	v_and_b32_e32 v8, 0xffff, v1
	flat_load_dwordx2 v[6:7], v[6:7]
	s_waitcnt vmcnt(0) lgkmcnt(0)
	v_mad_u64_u32 v[26:27], null, 0xa8, v8, v[6:7]
	flat_load_dword v6, v[26:27] offset:640
	s_waitcnt vmcnt(0) lgkmcnt(0)
	v_cmpx_eq_u32_e32 1, v6
	s_cbranch_execz .LBB8_57
; %bb.56:
	flat_load_dwordx2 v[16:17], v[26:27] offset:648
	v_or_b32_e32 v52, 0x2000, v52
	s_waitcnt vmcnt(0) lgkmcnt(0)
	flat_load_dwordx2 v[6:7], v[16:17]
	s_trap 2
	s_waitcnt vmcnt(0) lgkmcnt(0)
	ds_write_b64 v0, v[6:7]
	flat_load_dwordx2 v[6:7], v[16:17] offset:8
	s_waitcnt vmcnt(0) lgkmcnt(0)
	ds_write_b64 v0, v[6:7]
	flat_load_dwordx2 v[6:7], v[16:17] offset:16
	s_waitcnt vmcnt(0) lgkmcnt(0)
	ds_write_b64 v0, v[6:7]
.LBB8_57:
	s_or_b32 exec_lo, exec_lo, s5
	flat_load_dwordx2 v[8:9], v[26:27] offset:608
	v_and_b32_e32 v6, 32, v52
	s_mov_b32 s5, exec_lo
                                        ; implicit-def: $vgpr20_vgpr21
	v_cmpx_ne_u32_e32 0, v6
	s_cbranch_execz .LBB8_59
; %bb.58:
	flat_load_dwordx2 v[20:21], v[26:27] offset:560
	s_waitcnt vmcnt(0) lgkmcnt(0)
	s_waitcnt_vscnt null, 0x0
	flat_store_dwordx2 v[20:21], v[8:9]
.LBB8_59:
	s_or_b32 exec_lo, exec_lo, s5
	v_and_b32_e32 v22, 4, v52
	v_add_co_u32 v18, vcc_lo, 0x1f8, v26
	v_mov_b32_e32 v6, 0
	v_add_co_ci_u32_e64 v19, null, 0, v27, vcc_lo
	v_mov_b32_e32 v7, 0
	v_cmp_ne_u32_e32 vcc_lo, 0, v22
                                        ; implicit-def: $vgpr53
                                        ; implicit-def: $vgpr22_vgpr23
                                        ; implicit-def: $vgpr28_vgpr29
	s_and_saveexec_b32 s5, vcc_lo
	s_cbranch_execz .LBB8_63
; %bb.60:
	v_and_b32_e32 v6, 0x800, v52
	s_mov_b32 s6, exec_lo
	v_cmpx_eq_u32_e32 0, v6
	s_cbranch_execz .LBB8_62
; %bb.61:
	s_trap 2
	ds_write_b64 v0, v[18:19]
.LBB8_62:
	s_or_b32 exec_lo, exec_lo, s6
	flat_load_dwordx2 v[20:21], v[26:27] offset:552
	s_waitcnt vmcnt(0) lgkmcnt(0)
	flat_load_dwordx2 v[28:29], v[20:21] glc dlc
	s_clause 0x2
	flat_load_dwordx2 v[6:7], v[26:27] offset:600
	flat_load_dword v53, v[26:27] offset:576
	flat_load_dwordx2 v[22:23], v[26:27] offset:520
	v_or_b32_e32 v26, 0x100, v52
	s_waitcnt vmcnt(2) lgkmcnt(2)
	v_cmp_eq_u64_e32 vcc_lo, 0, v[6:7]
	v_cndmask_b32_e32 v52, v26, v52, vcc_lo
.LBB8_63:
	s_or_b32 exec_lo, exec_lo, s5
.LBB8_64:
	s_or_b32 exec_lo, exec_lo, s4
	v_and_b32_e32 v26, 24, v52
	v_cmp_ne_u32_e32 vcc_lo, 0, v26
                                        ; implicit-def: $vgpr26_vgpr27
	s_and_saveexec_b32 s4, vcc_lo
	s_cbranch_execz .LBB8_72
; %bb.65:
	s_trap 2
	ds_read_b64 v[6:7], v0
	s_waitcnt lgkmcnt(1)
	v_ashrrev_i32_e32 v36, 31, v35
	v_and_b32_e32 v1, 0xffff, v1
	s_mov_b32 s5, exec_lo
                                        ; implicit-def: $vgpr26_vgpr27
	s_waitcnt vmcnt(0)
	v_lshlrev_b64 v[8:9], 3, v[35:36]
	s_waitcnt lgkmcnt(0)
	v_add_co_u32 v6, vcc_lo, v6, v8
	v_add_co_ci_u32_e64 v7, null, v7, v9, vcc_lo
	flat_load_dwordx2 v[6:7], v[6:7]
	s_waitcnt vmcnt(0) lgkmcnt(0)
	v_mad_u64_u32 v[18:19], null, 0xa8, v1, v[6:7]
	v_or_b32_e32 v1, 0x100, v52
	flat_load_dwordx4 v[6:9], v[18:19] offset:96
	s_waitcnt vmcnt(0) lgkmcnt(0)
	v_cmp_eq_u64_e32 vcc_lo, 0, v[6:7]
	v_cndmask_b32_e32 v52, v1, v52, vcc_lo
	v_and_b32_e32 v1, 16, v52
	v_cmpx_ne_u32_e32 0, v1
	s_cbranch_execz .LBB8_67
; %bb.66:
	s_clause 0x2
	flat_load_dwordx2 v[20:21], v[18:19] offset:48
	flat_load_dwordx2 v[26:27], v[18:19] offset:120
	;; [unrolled: 1-line block ×3, first 2 shown]
.LBB8_67:
	s_or_b32 exec_lo, exec_lo, s5
	v_and_b32_e32 v1, 8, v52
	s_mov_b32 s5, exec_lo
	v_cmpx_ne_u32_e32 0, v1
	s_cbranch_execz .LBB8_71
; %bb.68:
	v_and_b32_e32 v1, 0x800, v52
	s_mov_b32 s6, exec_lo
	v_cmpx_eq_u32_e32 0, v1
	s_cbranch_execz .LBB8_70
; %bb.69:
	s_trap 2
	ds_write_b64 v0, v[18:19]
.LBB8_70:
	s_or_b32 exec_lo, exec_lo, s6
	s_waitcnt vmcnt(2) lgkmcnt(2)
	flat_load_dwordx2 v[20:21], v[18:19] offset:56
	s_waitcnt vmcnt(0) lgkmcnt(0)
	flat_load_dwordx2 v[28:29], v[20:21] glc dlc
	s_clause 0x1
	flat_load_dword v53, v[18:19] offset:72
	flat_load_dwordx2 v[22:23], v[18:19] offset:16
.LBB8_71:
	s_or_b32 exec_lo, exec_lo, s5
.LBB8_72:
	s_or_b32 exec_lo, exec_lo, s4
	v_cmp_eq_u32_e64 s4, 0, v0
	s_and_saveexec_b32 s5, s4
	s_cbranch_execz .LBB8_74
; %bb.73:
	s_waitcnt lgkmcnt(0)
	flat_load_dwordx2 v[35:36], v[2:3] offset:32
	s_waitcnt vmcnt(3)
	v_mov_b32_e32 v48, v12
	v_mov_b32_e32 v49, v13
	;; [unrolled: 1-line block ×4, first 2 shown]
	ds_write2_b64 v0, v[48:49], v[50:51] offset1:1
	s_trap 2
	s_waitcnt vmcnt(0) lgkmcnt(1)
	ds_write_b64 v0, v[35:36]
	ds_write_b64 v0, v[24:25]
.LBB8_74:
	s_or_b32 exec_lo, exec_lo, s5
	s_waitcnt vmcnt(1)
	v_mov_b32_e32 v24, 0
	v_mov_b32_e32 v25, 0
	s_mov_b32 s26, exec_lo
	s_trap 2
	v_cmpx_ne_u64_e32 0, v[4:5]
	s_cbranch_execz .LBB8_1000
; %bb.75:
	flat_load_dword v36, v[2:3] offset:4
	v_cvt_f64_u32_e32 v[2:3], 0
	v_lshlrev_b32_e32 v24, 9, v34
	v_cmp_ne_u64_e64 s17, v[12:13], v[10:11]
	v_ashrrev_i32_e32 v25, 31, v0
	v_and_b32_e32 v34, 31, v31
	s_ashr_i32 s14, s12, 31
	v_and_b32_e32 v65, 0x3ffffe00, v24
	v_lshrrev_b32_e32 v55, 5, v30
	v_lshrrev_b32_e32 v12, 27, v25
	s_xor_b32 s18, s13, -1
	s_lshr_b32 s13, s14, 24
	v_cvt_f64_u32_e32 v[10:11], v65
	v_and_b32_e32 v64, 0x1fe0, v30
	v_add_nc_u32_e32 v12, v0, v12
	s_add_i32 s13, s12, s13
	v_cmp_eq_u32_e64 s12, 0, v34
	v_lshlrev_b32_e32 v68, 9, v55
	v_subrev_nc_u32_e32 v70, 32, v64
	v_and_b32_e32 v13, 0xffffffe0, v12
	v_ashrrev_i32_e32 v81, 5, v12
	s_ashr_i32 s29, s13, 8
	v_add_nc_u32_e32 v80, 0xfffffe00, v68
	v_ldexp_f64 v[2:3], v[2:3], 32
	v_sub_nc_u32_e32 v84, v0, v13
	v_lshlrev_b32_e32 v12, 10, v81
	v_ashrrev_i32_e32 v82, 31, v70
	v_ashrrev_i32_e32 v83, 31, v80
	v_add_co_u32 v85, s13, v70, 32
	v_lshl_add_u32 v87, v84, 4, v12
	v_cmp_eq_u32_e32 vcc_lo, 32, v30
	v_add_co_ci_u32_e64 v86, null, 0, v82, s13
	v_add_co_u32 v96, s13, 0x200, v80
	v_add_nc_u32_e32 v98, v87, v12
	v_cmp_ne_u32_e64 s5, v32, v38
	v_cmp_ne_u32_e64 s6, v33, v38
	v_mov_b32_e32 v32, 0
	s_waitcnt lgkmcnt(2)
	v_cmp_eq_u64_e64 s10, 0, v[26:27]
	v_cmp_ne_u64_e64 s11, 0, v[26:27]
	v_mov_b32_e32 v24, 0
	v_mov_b32_e32 v1, 0
	v_ashrrev_i32_e32 v54, 31, v53
	s_waitcnt lgkmcnt(1)
	v_add_f64 v[34:35], v[2:3], v[10:11]
	v_cmp_ne_u32_e64 s7, 32, v30
	s_waitcnt vmcnt(1)
	v_cmp_ne_u32_sdwa s27, v30, v39 src0_sel:DWORD src1_sel:WORD_0
	v_mov_b32_e32 v33, 0
	v_mov_b32_e32 v66, 1
	;; [unrolled: 1-line block ×4, first 2 shown]
	v_lshlrev_b32_e32 v69, 10, v55
	v_lshlrev_b32_e32 v71, 11, v55
	v_add_co_ci_u32_e64 v97, null, 0, v83, s13
	v_cmp_lt_i32_e64 s13, v84, v37
	v_cmp_le_i32_e64 s14, v84, v37
	v_cmp_gt_i32_e64 s16, 1, v84
	v_ashrrev_i32_e32 v99, 31, v87
	v_ashrrev_i32_e32 v100, 31, v98
	s_mov_b32 s28, 0
	s_and_b32 s40, s18, s17
	s_xor_b32 s42, vcc_lo, -1
	s_trap 2
	s_waitcnt vmcnt(0) lgkmcnt(0)
	v_and_b32_e32 v2, 1, v36
	v_cmp_eq_u32_e64 s15, 1, v2
	s_xor_b32 s41, s15, -1
	s_branch .LBB8_77
.LBB8_76:                               ;   in Loop: Header=BB8_77 Depth=1
	s_or_b32 exec_lo, exec_lo, s17
	v_add_co_u32 v32, vcc_lo, v32, v65
	v_add_co_ci_u32_e64 v33, null, 0, v33, vcc_lo
	v_cmp_ge_u64_e32 vcc_lo, v[32:33], v[4:5]
	s_or_b32 s28, vcc_lo, s28
	s_andn2_b32 exec_lo, exec_lo, s28
	s_cbranch_execz .LBB8_999
.LBB8_77:                               ; =>This Loop Header: Depth=1
                                        ;     Child Loop BB8_96 Depth 2
                                        ;     Child Loop BB8_131 Depth 2
	;; [unrolled: 1-line block ×5, first 2 shown]
                                        ;       Child Loop BB8_220 Depth 3
                                        ;     Child Loop BB8_230 Depth 2
                                        ;     Child Loop BB8_235 Depth 2
                                        ;       Child Loop BB8_236 Depth 3
                                        ;     Child Loop BB8_247 Depth 2
                                        ;     Child Loop BB8_252 Depth 2
                                        ;     Child Loop BB8_261 Depth 2
                                        ;     Child Loop BB8_266 Depth 2
                                        ;     Child Loop BB8_281 Depth 2
                                        ;     Child Loop BB8_388 Depth 2
                                        ;     Child Loop BB8_430 Depth 2
                                        ;     Child Loop BB8_462 Depth 2
                                        ;     Child Loop BB8_532 Depth 2
                                        ;     Child Loop BB8_576 Depth 2
                                        ;     Child Loop BB8_600 Depth 2
                                        ;     Child Loop BB8_668 Depth 2
                                        ;     Child Loop BB8_707 Depth 2
                                        ;     Child Loop BB8_712 Depth 2
                                        ;     Child Loop BB8_721 Depth 2
                                        ;     Child Loop BB8_726 Depth 2
                                        ;     Child Loop BB8_740 Depth 2
                                        ;     Child Loop BB8_812 Depth 2
                                        ;     Child Loop BB8_852 Depth 2
                                        ;     Child Loop BB8_864 Depth 2
                                        ;     Child Loop BB8_958 Depth 2
                                        ;     Child Loop BB8_103 Depth 2
                                        ;     Child Loop BB8_155 Depth 2
                                        ;     Child Loop BB8_193 Depth 2
                                        ;     Child Loop BB8_302 Depth 2
                                        ;     Child Loop BB8_307 Depth 2
                                        ;       Child Loop BB8_308 Depth 3
                                        ;     Child Loop BB8_318 Depth 2
                                        ;     Child Loop BB8_323 Depth 2
                                        ;       Child Loop BB8_324 Depth 3
                                        ;     Child Loop BB8_335 Depth 2
                                        ;     Child Loop BB8_340 Depth 2
	;; [unrolled: 1-line block ×21, first 2 shown]
	v_sub_co_u32 v10, vcc_lo, v4, v32
	v_sub_co_ci_u32_e64 v2, null, v5, v33, vcc_lo
	v_max_f64 v[12:13], v[34:35], v[34:35]
	v_cvt_f64_u32_e32 v[10:11], v10
	s_mov_b32 s43, 0
	v_cvt_f64_u32_e32 v[2:3], v2
	v_ldexp_f64 v[2:3], v[2:3], 32
	v_add_f64 v[2:3], v[2:3], v[10:11]
	v_min_f64 v[2:3], v[12:13], v[2:3]
	v_cvt_i32_f64_e32 v10, v[2:3]
	v_max_i32_e32 v101, 0, v10
	v_cmp_gt_i32_e64 s17, 1, v10
	v_cmp_lt_i32_e64 s18, 0, v10
	v_add_nc_u32_e32 v2, 15, v101
	v_ashrrev_i32_e32 v3, 31, v2
	v_lshrrev_b32_e32 v3, 28, v3
	v_add_nc_u32_e32 v2, v2, v3
	v_and_b32_e32 v11, -16, v2
	v_add_co_u32 v2, vcc_lo, v32, v14
	v_add_co_ci_u32_e64 v3, null, v33, v15, vcc_lo
	v_max_i32_e32 v36, s29, v11
	s_and_saveexec_b32 s19, s5
	s_xor_b32 s44, exec_lo, s19
	s_cbranch_execz .LBB8_85
; %bb.78:                               ;   in Loop: Header=BB8_77 Depth=1
	s_mov_b32 s21, 0
	s_and_saveexec_b32 s19, s6
	s_xor_b32 s43, exec_lo, s19
	s_cbranch_execz .LBB8_566
; %bb.79:                               ;   in Loop: Header=BB8_77 Depth=1
	v_mov_b32_e32 v10, 0
	s_and_saveexec_b32 s45, s18
	s_cbranch_execz .LBB8_423
; %bb.80:                               ;   in Loop: Header=BB8_77 Depth=1
	s_and_saveexec_b32 s20, s4
	s_cbranch_execz .LBB8_82
; %bb.81:                               ;   in Loop: Header=BB8_77 Depth=1
	s_trap 2
	ds_read_b128 v[10:13], v0
	s_waitcnt lgkmcnt(0)
	v_add_co_u32 v37, vcc_lo, v12, v2
	v_add_co_ci_u32_e64 v38, null, v13, v3, vcc_lo
	v_cmp_ne_u64_e32 vcc_lo, 0, v[12:13]
	v_add_co_u32 v2, s19, v10, v2
	v_add_co_ci_u32_e64 v3, null, v11, v3, s19
	v_cndmask_b32_e32 v11, 0, v38, vcc_lo
	v_cndmask_b32_e32 v10, 0, v37, vcc_lo
	ds_write_b64 v0, v[2:3]
	ds_write_b64 v0, v[10:11]
.LBB8_82:                               ;   in Loop: Header=BB8_77 Depth=1
	s_or_b32 exec_lo, exec_lo, s20
	v_and_b32_e32 v2, 12, v52
	v_min_i32_e32 v36, v36, v101
	s_mov_b32 s20, exec_lo
	v_cmpx_ne_u32_e32 0, v2
	s_cbranch_execz .LBB8_123
; %bb.83:                               ;   in Loop: Header=BB8_77 Depth=1
	v_and_b32_e32 v13, 8, v52
	s_mov_b32 s21, exec_lo
	s_waitcnt vmcnt(0) lgkmcnt(1)
	v_add_co_u32 v10, vcc_lo, v28, v13
	v_add_co_ci_u32_e64 v11, null, 0, v29, vcc_lo
	v_add_co_u32 v2, vcc_lo, v8, 1
	v_add_co_ci_u32_e64 v3, null, 0, v9, vcc_lo
	v_cmpx_lt_u64_e64 v[10:11], v[2:3]
	s_cbranch_execz .LBB8_110
; %bb.84:                               ;   in Loop: Header=BB8_77 Depth=1
	v_and_b32_e32 v9, 64, v52
	s_mov_b32 s22, 0
	s_mov_b32 s56, 0
                                        ; implicit-def: $sgpr23
                                        ; implicit-def: $sgpr46
                                        ; implicit-def: $sgpr47
	v_cmp_eq_u32_e32 vcc_lo, 0, v9
	s_branch .LBB8_96
.LBB8_85:                               ;   in Loop: Header=BB8_77 Depth=1
	s_andn2_saveexec_b32 s44, s44
	s_cbranch_execz .LBB8_997
.LBB8_86:                               ;   in Loop: Header=BB8_77 Depth=1
	s_mov_b32 s21, 0
	s_mov_b32 s20, s43
	s_and_saveexec_b32 s19, s40
	s_xor_b32 s45, exec_lo, s19
	s_cbranch_execz .LBB8_615
; %bb.87:                               ;   in Loop: Header=BB8_77 Depth=1
	v_mov_b32_e32 v10, 0
	s_and_saveexec_b32 s46, s18
	s_cbranch_execz .LBB8_478
; %bb.88:                               ;   in Loop: Header=BB8_77 Depth=1
	s_and_saveexec_b32 s20, s4
	s_cbranch_execz .LBB8_90
; %bb.89:                               ;   in Loop: Header=BB8_77 Depth=1
	s_trap 2
	ds_read2_b64 v[10:13], v0 offset1:1
	ds_read_b64 v[37:38], v0
	s_waitcnt lgkmcnt(1)
	v_add_co_u32 v10, vcc_lo, v10, v2
	v_add_co_ci_u32_e64 v11, null, v11, v3, vcc_lo
	s_waitcnt lgkmcnt(0)
	v_add_co_u32 v48, vcc_lo, v37, v2
	v_add_co_ci_u32_e64 v49, null, v38, v3, vcc_lo
	v_cmp_ne_u64_e32 vcc_lo, 0, v[37:38]
	v_add_co_u32 v2, s19, v12, v2
	v_add_co_ci_u32_e64 v3, null, v13, v3, s19
	v_cndmask_b32_e32 v13, 0, v49, vcc_lo
	v_cndmask_b32_e32 v12, 0, v48, vcc_lo
	ds_write_b64 v0, v[10:11]
	ds_write_b64 v0, v[2:3]
	;; [unrolled: 1-line block ×3, first 2 shown]
.LBB8_90:                               ;   in Loop: Header=BB8_77 Depth=1
	s_or_b32 exec_lo, exec_lo, s20
	v_and_b32_e32 v2, 8, v52
	v_min_i32_e32 v36, v36, v101
	s_mov_b32 s20, exec_lo
	v_cmpx_ne_u32_e32 0, v2
	s_cbranch_execz .LBB8_147
; %bb.91:                               ;   in Loop: Header=BB8_77 Depth=1
	s_waitcnt vmcnt(0) lgkmcnt(1)
	v_add_co_u32 v10, vcc_lo, v28, 8
	v_add_co_ci_u32_e64 v11, null, 0, v29, vcc_lo
	v_add_co_u32 v2, vcc_lo, v8, 1
	v_add_co_ci_u32_e64 v3, null, 0, v9, vcc_lo
	s_mov_b32 s21, exec_lo
	v_cmpx_lt_u64_e64 v[10:11], v[2:3]
	s_cbranch_execz .LBB8_138
; %bb.92:                               ;   in Loop: Header=BB8_77 Depth=1
	v_and_b32_e32 v9, 64, v52
	s_mov_b32 s22, 0
	s_mov_b32 s57, 0
                                        ; implicit-def: $sgpr23
                                        ; implicit-def: $sgpr47
                                        ; implicit-def: $sgpr56
	v_cmp_eq_u32_e32 vcc_lo, 0, v9
	s_branch .LBB8_103
.LBB8_93:                               ;   in Loop: Header=BB8_96 Depth=2
	s_waitcnt vmcnt(0) lgkmcnt(0)
	v_add_co_u32 v10, s19, v28, v13
	v_add_co_ci_u32_e64 v11, null, 0, v29, s19
	s_or_b32 s59, s59, exec_lo
	v_cmp_ge_u64_e64 s19, v[10:11], v[2:3]
	s_orn2_b32 s58, s19, exec_lo
.LBB8_94:                               ;   in Loop: Header=BB8_96 Depth=2
	s_or_b32 exec_lo, exec_lo, s61
	s_andn2_b32 s19, s47, exec_lo
	s_and_b32 s47, s59, exec_lo
	s_andn2_b32 s46, s46, exec_lo
	s_and_b32 s58, s58, exec_lo
	s_or_b32 s47, s19, s47
	s_or_b32 s46, s46, s58
.LBB8_95:                               ;   in Loop: Header=BB8_96 Depth=2
	s_or_b32 exec_lo, exec_lo, s57
	s_and_b32 s19, exec_lo, s46
	s_or_b32 s22, s19, s22
	s_andn2_b32 s19, s23, exec_lo
	s_and_b32 s23, s47, exec_lo
	s_or_b32 s23, s19, s23
	s_andn2_b32 exec_lo, exec_lo, s22
	s_cbranch_execz .LBB8_107
.LBB8_96:                               ;   Parent Loop BB8_77 Depth=1
                                        ; =>  This Inner Loop Header: Depth=2
	s_sleep 1
	s_waitcnt vmcnt(0) lgkmcnt(0)
	flat_load_dwordx2 v[28:29], v[20:21] glc dlc
	s_or_b32 s47, s47, exec_lo
	s_or_b32 s46, s46, exec_lo
                                        ; implicit-def: $vgpr9
	s_and_saveexec_b32 s57, vcc_lo
	s_cbranch_execz .LBB8_95
; %bb.97:                               ;   in Loop: Header=BB8_96 Depth=2
	s_cmpk_lt_i32 s56, 0x270f
	s_mov_b32 s58, -1
	s_cselect_b32 s60, -1, 0
	s_cmpk_gt_i32 s56, 0x270e
	s_cbranch_scc0 .LBB8_99
; %bb.98:                               ;   in Loop: Header=BB8_96 Depth=2
	s_trap 2
	ds_read_b64 v[9:10], v0
	s_andn2_b32 s56, s60, exec_lo
	s_mov_b32 s59, 0
	s_waitcnt vmcnt(0) lgkmcnt(0)
	s_waitcnt_vscnt null, 0x0
	flat_load_dword v9, v[9:10] glc dlc
	s_waitcnt vmcnt(0) lgkmcnt(0)
	buffer_gl1_inv
	buffer_gl0_inv
	v_cmp_eq_u32_e64 s19, 0, v9
	s_and_b32 s19, s19, exec_lo
	s_or_b32 s60, s56, s19
	s_mov_b32 s56, 0
	s_and_saveexec_b32 s61, s60
	s_cbranch_execz .LBB8_94
	s_branch .LBB8_93
.LBB8_99:                               ;   in Loop: Header=BB8_96 Depth=2
	s_add_i32 s56, s56, 1
	s_mov_b32 s59, -1
                                        ; implicit-def: $vgpr9
	s_and_saveexec_b32 s61, s60
	s_cbranch_execz .LBB8_94
	s_branch .LBB8_93
.LBB8_100:                              ;   in Loop: Header=BB8_103 Depth=2
	s_waitcnt vmcnt(0) lgkmcnt(0)
	v_add_co_u32 v10, s19, v28, 8
	v_add_co_ci_u32_e64 v11, null, 0, v29, s19
	s_or_b32 s60, s60, exec_lo
	v_cmp_ge_u64_e64 s19, v[10:11], v[2:3]
	s_orn2_b32 s59, s19, exec_lo
.LBB8_101:                              ;   in Loop: Header=BB8_103 Depth=2
	s_or_b32 exec_lo, exec_lo, s62
	s_andn2_b32 s19, s56, exec_lo
	s_and_b32 s56, s60, exec_lo
	s_andn2_b32 s47, s47, exec_lo
	s_and_b32 s59, s59, exec_lo
	s_or_b32 s56, s19, s56
	s_or_b32 s47, s47, s59
.LBB8_102:                              ;   in Loop: Header=BB8_103 Depth=2
	s_or_b32 exec_lo, exec_lo, s58
	s_and_b32 s19, exec_lo, s47
	s_or_b32 s22, s19, s22
	s_andn2_b32 s19, s23, exec_lo
	s_and_b32 s23, s56, exec_lo
	s_or_b32 s23, s19, s23
	s_andn2_b32 exec_lo, exec_lo, s22
	s_cbranch_execz .LBB8_135
.LBB8_103:                              ;   Parent Loop BB8_77 Depth=1
                                        ; =>  This Inner Loop Header: Depth=2
	s_sleep 1
	s_waitcnt vmcnt(0) lgkmcnt(0)
	flat_load_dwordx2 v[28:29], v[20:21] glc dlc
	s_or_b32 s56, s56, exec_lo
	s_or_b32 s47, s47, exec_lo
                                        ; implicit-def: $vgpr9
	s_and_saveexec_b32 s58, vcc_lo
	s_cbranch_execz .LBB8_102
; %bb.104:                              ;   in Loop: Header=BB8_103 Depth=2
	s_cmpk_lt_i32 s57, 0x270f
	s_mov_b32 s59, -1
	s_cselect_b32 s61, -1, 0
	s_cmpk_gt_i32 s57, 0x270e
	s_cbranch_scc0 .LBB8_106
; %bb.105:                              ;   in Loop: Header=BB8_103 Depth=2
	s_trap 2
	ds_read_b64 v[9:10], v0
	s_andn2_b32 s57, s61, exec_lo
	s_mov_b32 s60, 0
	s_waitcnt vmcnt(0) lgkmcnt(0)
	s_waitcnt_vscnt null, 0x0
	flat_load_dword v9, v[9:10] glc dlc
	s_waitcnt vmcnt(0) lgkmcnt(0)
	buffer_gl1_inv
	buffer_gl0_inv
	v_cmp_eq_u32_e64 s19, 0, v9
	s_and_b32 s19, s19, exec_lo
	s_or_b32 s61, s57, s19
	s_mov_b32 s57, 0
	s_and_saveexec_b32 s62, s61
	s_cbranch_execz .LBB8_101
	s_branch .LBB8_100
.LBB8_106:                              ;   in Loop: Header=BB8_103 Depth=2
	s_add_i32 s57, s57, 1
	s_mov_b32 s60, -1
                                        ; implicit-def: $vgpr9
	s_and_saveexec_b32 s62, s61
	s_cbranch_execz .LBB8_101
	s_branch .LBB8_100
.LBB8_107:                              ;   in Loop: Header=BB8_77 Depth=1
	s_or_b32 exec_lo, exec_lo, s22
	s_xor_b32 s19, s23, -1
	s_and_saveexec_b32 s22, s19
	s_xor_b32 s19, exec_lo, s22
	s_cbranch_execz .LBB8_109
; %bb.108:                              ;   in Loop: Header=BB8_77 Depth=1
	v_or_b32_e32 v52, 64, v52
	s_waitcnt vmcnt(0) lgkmcnt(0)
	s_waitcnt_vscnt null, 0x0
	ds_write_b32 v0, v9
	s_trap 2
.LBB8_109:                              ;   in Loop: Header=BB8_77 Depth=1
	s_or_b32 exec_lo, exec_lo, s19
.LBB8_110:                              ;   in Loop: Header=BB8_77 Depth=1
	s_or_b32 exec_lo, exec_lo, s21
	v_and_b32_e32 v9, 0x108, v52
	;;#ASMSTART
	s_wakeup
	;;#ASMEND
	v_cmp_ne_u32_e32 vcc_lo, 0x108, v9
                                        ; implicit-def: $vgpr9_vgpr10
	s_and_saveexec_b32 s19, vcc_lo
	s_xor_b32 s19, exec_lo, s19
; %bb.111:                              ;   in Loop: Header=BB8_77 Depth=1
	v_and_b32_e32 v9, 7, v8
	v_mov_b32_e32 v10, v1
; %bb.112:                              ;   in Loop: Header=BB8_77 Depth=1
	s_andn2_saveexec_b32 s19, s19
	s_cbranch_execz .LBB8_114
; %bb.113:                              ;   in Loop: Header=BB8_77 Depth=1
	v_and_b32_e32 v9, 7, v8
	v_ashrrev_i32_e32 v37, 31, v36
	v_mov_b32_e32 v10, v1
	v_mad_u64_u32 v[11:12], null, v9, 24, v[6:7]
	flat_store_dwordx2 v[11:12], v[36:37] offset:8
.LBB8_114:                              ;   in Loop: Header=BB8_77 Depth=1
	s_or_b32 exec_lo, exec_lo, s19
	v_and_b32_e32 v8, 0x100, v52
	s_mov_b32 s19, -1
	s_mov_b32 s21, exec_lo
                                        ; implicit-def: $vgpr11_vgpr12
	v_cmpx_ne_u32_e32 0, v8
	s_cbranch_execz .LBB8_118
; %bb.115:                              ;   in Loop: Header=BB8_77 Depth=1
	v_mad_u64_u32 v[37:38], null, v9, 24, v[6:7]
	s_mov_b32 s22, exec_lo
	v_mov_b32_e32 v8, v38
	v_mad_u64_u32 v[11:12], null, v10, 24, v[8:9]
	v_mov_b32_e32 v38, v11
                                        ; implicit-def: $vgpr11_vgpr12
	flat_load_dword v8, v[37:38]
	s_waitcnt vmcnt(0) lgkmcnt(0)
	v_cmp_ne_u32_e32 vcc_lo, 1, v8
	v_cmpx_eq_u32_e32 1, v8
	s_cbranch_execz .LBB8_117
; %bb.116:                              ;   in Loop: Header=BB8_77 Depth=1
	flat_load_dword v11, v[37:38] offset:4 glc dlc
	s_waitcnt vmcnt(0) lgkmcnt(0)
	v_ashrrev_i32_e32 v12, 31, v11
.LBB8_117:                              ;   in Loop: Header=BB8_77 Depth=1
	s_or_b32 exec_lo, exec_lo, s22
	s_orn2_b32 s19, vcc_lo, exec_lo
.LBB8_118:                              ;   in Loop: Header=BB8_77 Depth=1
	s_or_b32 exec_lo, exec_lo, s21
	s_and_saveexec_b32 s21, s19
; %bb.119:                              ;   in Loop: Header=BB8_77 Depth=1
	v_mul_lo_u32 v8, v10, v53
	v_mul_lo_u32 v10, v9, v54
	v_mad_u64_u32 v[11:12], null, v9, v53, 0
	v_add3_u32 v12, v12, v10, v8
; %bb.120:                              ;   in Loop: Header=BB8_77 Depth=1
	s_or_b32 exec_lo, exec_lo, s21
	v_cmp_eq_u32_e32 vcc_lo, 0, v13
	v_and_b32_e32 v13, 0x2000, v52
	s_mov_b32 s19, exec_lo
	v_cndmask_b32_e32 v10, 0xd0, v67, vcc_lo
	v_add_co_u32 v8, vcc_lo, v22, v11
	v_add_co_ci_u32_e64 v9, null, v23, v12, vcc_lo
	v_add_nc_u32_e32 v10, v0, v10
	ds_write_b64 v10, v[8:9] offset:584
	v_cmpx_ne_u32_e32 0, v13
	s_cbranch_execz .LBB8_122
; %bb.121:                              ;   in Loop: Header=BB8_77 Depth=1
	ds_read_b64 v[8:9], v0 offset:872
	s_waitcnt lgkmcnt(0)
	v_add_co_u32 v8, vcc_lo, v8, 1
	v_add_co_ci_u32_e64 v9, null, 0, v9, vcc_lo
	ds_write_b64 v0, v[8:9] offset:872
.LBB8_122:                              ;   in Loop: Header=BB8_77 Depth=1
	s_or_b32 exec_lo, exec_lo, s19
	v_mov_b32_e32 v9, v3
	v_mov_b32_e32 v8, v2
.LBB8_123:                              ;   in Loop: Header=BB8_77 Depth=1
	s_or_b32 exec_lo, exec_lo, s20
	s_and_saveexec_b32 s19, s7
	s_cbranch_execz .LBB8_166
; %bb.124:                              ;   in Loop: Header=BB8_77 Depth=1
	s_and_saveexec_b32 s20, s27
	s_xor_b32 s20, exec_lo, s20
	s_cbranch_execz .LBB8_163
; %bb.125:                              ;   in Loop: Header=BB8_77 Depth=1
	s_and_saveexec_b32 s21, s12
	s_cbranch_execz .LBB8_162
; %bb.126:                              ;   in Loop: Header=BB8_77 Depth=1
	s_mov_b32 s23, exec_lo
	s_mov_b32 s22, exec_lo
	v_mbcnt_lo_u32_b32 v2, s23, 0
	s_waitcnt vmcnt(0) lgkmcnt(0)
	s_waitcnt_vscnt null, 0x0
	buffer_gl1_inv
	buffer_gl0_inv
	v_cmpx_eq_u32_e32 0, v2
	s_cbranch_execz .LBB8_128
; %bb.127:                              ;   in Loop: Header=BB8_77 Depth=1
	s_bcnt1_i32_b32 s23, s23
	v_mov_b32_e32 v3, v1
	v_mov_b32_e32 v2, s23
	ds_add_u64 v0, v[2:3]
	s_trap 2
.LBB8_128:                              ;   in Loop: Header=BB8_77 Depth=1
	s_or_b32 exec_lo, exec_lo, s22
	s_trap 2
	ds_read_b64 v[2:3], v0
	s_waitcnt lgkmcnt(0)
	buffer_gl0_inv
	v_add_co_u32 v24, vcc_lo, v24, v55
	v_add_co_ci_u32_e64 v25, null, 0, v25, vcc_lo
	s_mov_b32 s22, exec_lo
	v_cmpx_lt_u64_e64 v[2:3], v[24:25]
	s_cbranch_execz .LBB8_161
; %bb.129:                              ;   in Loop: Header=BB8_77 Depth=1
	s_mov_b32 s23, 0
	s_mov_b32 s56, 0
                                        ; implicit-def: $sgpr46
                                        ; implicit-def: $sgpr47
	s_inst_prefetch 0x1
	s_branch .LBB8_131
	.p2align	6
.LBB8_130:                              ;   in Loop: Header=BB8_131 Depth=2
	s_or_b32 exec_lo, exec_lo, s58
	s_and_b32 s57, exec_lo, s59
	s_or_b32 s23, s57, s23
	s_andn2_b32 s46, s46, exec_lo
	s_and_b32 s57, s47, exec_lo
	s_or_b32 s46, s46, s57
	s_andn2_b32 exec_lo, exec_lo, s23
	s_cbranch_execz .LBB8_159
.LBB8_131:                              ;   Parent Loop BB8_77 Depth=1
                                        ; =>  This Inner Loop Header: Depth=2
	s_add_i32 s56, s56, 1
	s_cmpk_lg_i32 s56, 0x2710
	s_cselect_b32 s57, -1, 0
	s_and_b32 vcc_lo, exec_lo, s57
	s_cbranch_vccz .LBB8_133
; %bb.132:                              ;   in Loop: Header=BB8_131 Depth=2
	s_mov_b32 s59, -1
	s_or_b32 s47, s47, exec_lo
	s_and_saveexec_b32 s58, s57
	s_cbranch_execz .LBB8_130
	s_branch .LBB8_134
	.p2align	6
.LBB8_133:                              ;   in Loop: Header=BB8_131 Depth=2
	s_trap 2
	ds_read_b64 v[2:3], v0
	s_andn2_b32 s57, s57, exec_lo
	s_mov_b32 s56, 0
	s_waitcnt lgkmcnt(0)
	flat_load_dword v2, v[2:3] glc dlc
	s_waitcnt vmcnt(0) lgkmcnt(0)
	buffer_gl1_inv
	buffer_gl0_inv
	v_cmp_eq_u32_e32 vcc_lo, 0, v2
	s_and_b32 s58, vcc_lo, exec_lo
	s_or_b32 s57, s57, s58
	s_mov_b32 s59, -1
	s_or_b32 s47, s47, exec_lo
	s_and_saveexec_b32 s58, s57
	s_cbranch_execz .LBB8_130
.LBB8_134:                              ;   in Loop: Header=BB8_131 Depth=2
	s_sleep 1
	s_trap 2
	ds_read_b64 v[2:3], v0
	s_waitcnt lgkmcnt(0)
	buffer_gl0_inv
	s_andn2_b32 s47, s47, exec_lo
	v_cmp_ge_u64_e32 vcc_lo, v[2:3], v[24:25]
	s_orn2_b32 s59, vcc_lo, exec_lo
	s_branch .LBB8_130
.LBB8_135:                              ;   in Loop: Header=BB8_77 Depth=1
	s_or_b32 exec_lo, exec_lo, s22
	s_xor_b32 s19, s23, -1
	s_and_saveexec_b32 s22, s19
	s_xor_b32 s19, exec_lo, s22
	s_cbranch_execz .LBB8_137
; %bb.136:                              ;   in Loop: Header=BB8_77 Depth=1
	v_or_b32_e32 v52, 64, v52
	s_waitcnt vmcnt(0) lgkmcnt(0)
	s_waitcnt_vscnt null, 0x0
	ds_write_b32 v0, v9
	s_trap 2
.LBB8_137:                              ;   in Loop: Header=BB8_77 Depth=1
	s_or_b32 exec_lo, exec_lo, s19
.LBB8_138:                              ;   in Loop: Header=BB8_77 Depth=1
	s_or_b32 exec_lo, exec_lo, s21
	v_and_b32_e32 v9, 0x100, v52
	v_and_b32_e32 v12, 7, v8
	s_mov_b32 s19, -1
	;;#ASMSTART
	s_wakeup
	;;#ASMEND
	v_cmp_ne_u32_e32 vcc_lo, 0, v9
                                        ; implicit-def: $vgpr8_vgpr9
	s_and_saveexec_b32 s21, vcc_lo
	s_cbranch_execz .LBB8_142
; %bb.139:                              ;   in Loop: Header=BB8_77 Depth=1
	v_mad_u64_u32 v[10:11], null, v12, 24, v[6:7]
	v_ashrrev_i32_e32 v37, 31, v36
	flat_load_dword v8, v[10:11]
	flat_store_dwordx2 v[10:11], v[36:37] offset:8
	s_waitcnt vmcnt(0) lgkmcnt(1)
	v_cmp_eq_u32_e64 s19, 1, v8
	v_cmp_ne_u32_e32 vcc_lo, 1, v8
                                        ; implicit-def: $vgpr8_vgpr9
	s_and_saveexec_b32 s22, s19
	s_cbranch_execz .LBB8_141
; %bb.140:                              ;   in Loop: Header=BB8_77 Depth=1
	flat_load_dword v8, v[10:11] offset:4 glc dlc
	s_waitcnt vmcnt(0) lgkmcnt(0)
	v_ashrrev_i32_e32 v9, 31, v8
.LBB8_141:                              ;   in Loop: Header=BB8_77 Depth=1
	s_or_b32 exec_lo, exec_lo, s22
	s_orn2_b32 s19, vcc_lo, exec_lo
.LBB8_142:                              ;   in Loop: Header=BB8_77 Depth=1
	s_or_b32 exec_lo, exec_lo, s21
	s_and_saveexec_b32 s21, s19
; %bb.143:                              ;   in Loop: Header=BB8_77 Depth=1
	v_mad_i64_i32 v[8:9], null, v12, v53, 0
; %bb.144:                              ;   in Loop: Header=BB8_77 Depth=1
	s_or_b32 exec_lo, exec_lo, s21
	v_add_co_u32 v8, vcc_lo, v22, v8
	v_and_b32_e32 v10, 0x2000, v52
	v_add_co_ci_u32_e64 v9, null, v23, v9, vcc_lo
	s_mov_b32 s19, exec_lo
	ds_write_b64 v0, v[8:9] offset:792
	v_cmpx_ne_u32_e32 0, v10
	s_cbranch_execz .LBB8_146
; %bb.145:                              ;   in Loop: Header=BB8_77 Depth=1
	ds_read_b64 v[8:9], v0 offset:872
	s_waitcnt lgkmcnt(0)
	v_add_co_u32 v8, vcc_lo, v8, 1
	v_add_co_ci_u32_e64 v9, null, 0, v9, vcc_lo
	ds_write_b64 v0, v[8:9] offset:872
.LBB8_146:                              ;   in Loop: Header=BB8_77 Depth=1
	s_or_b32 exec_lo, exec_lo, s19
	v_mov_b32_e32 v9, v3
	v_mov_b32_e32 v8, v2
.LBB8_147:                              ;   in Loop: Header=BB8_77 Depth=1
	s_or_b32 exec_lo, exec_lo, s20
	s_and_saveexec_b32 s19, s7
	s_cbranch_execz .LBB8_185
; %bb.148:                              ;   in Loop: Header=BB8_77 Depth=1
	s_and_saveexec_b32 s20, s27
	s_xor_b32 s20, exec_lo, s20
	s_cbranch_execz .LBB8_182
; %bb.149:                              ;   in Loop: Header=BB8_77 Depth=1
	s_and_saveexec_b32 s21, s12
	s_cbranch_execz .LBB8_181
; %bb.150:                              ;   in Loop: Header=BB8_77 Depth=1
	s_mov_b32 s23, exec_lo
	s_mov_b32 s22, exec_lo
	v_mbcnt_lo_u32_b32 v2, s23, 0
	s_waitcnt vmcnt(0) lgkmcnt(0)
	s_waitcnt_vscnt null, 0x0
	buffer_gl1_inv
	buffer_gl0_inv
	v_cmpx_eq_u32_e32 0, v2
	s_cbranch_execz .LBB8_152
; %bb.151:                              ;   in Loop: Header=BB8_77 Depth=1
	s_bcnt1_i32_b32 s23, s23
	v_mov_b32_e32 v3, v1
	v_mov_b32_e32 v2, s23
	ds_add_u64 v0, v[2:3]
	s_trap 2
.LBB8_152:                              ;   in Loop: Header=BB8_77 Depth=1
	s_or_b32 exec_lo, exec_lo, s22
	s_trap 2
	ds_read_b64 v[2:3], v0
	s_waitcnt lgkmcnt(0)
	buffer_gl0_inv
	v_add_co_u32 v24, vcc_lo, v24, v55
	v_add_co_ci_u32_e64 v25, null, 0, v25, vcc_lo
	s_mov_b32 s22, exec_lo
	v_cmpx_lt_u64_e64 v[2:3], v[24:25]
	s_cbranch_execz .LBB8_180
; %bb.153:                              ;   in Loop: Header=BB8_77 Depth=1
	s_mov_b32 s23, 0
	s_mov_b32 s57, 0
                                        ; implicit-def: $sgpr47
                                        ; implicit-def: $sgpr56
	s_inst_prefetch 0x1
	s_branch .LBB8_155
	.p2align	6
.LBB8_154:                              ;   in Loop: Header=BB8_155 Depth=2
	s_or_b32 exec_lo, exec_lo, s59
	s_and_b32 s58, exec_lo, s60
	s_or_b32 s23, s58, s23
	s_andn2_b32 s47, s47, exec_lo
	s_and_b32 s58, s56, exec_lo
	s_or_b32 s47, s47, s58
	s_andn2_b32 exec_lo, exec_lo, s23
	s_cbranch_execz .LBB8_178
.LBB8_155:                              ;   Parent Loop BB8_77 Depth=1
                                        ; =>  This Inner Loop Header: Depth=2
	s_add_i32 s57, s57, 1
	s_cmpk_lg_i32 s57, 0x2710
	s_cselect_b32 s58, -1, 0
	s_and_b32 vcc_lo, exec_lo, s58
	s_cbranch_vccz .LBB8_157
; %bb.156:                              ;   in Loop: Header=BB8_155 Depth=2
	s_mov_b32 s60, -1
	s_or_b32 s56, s56, exec_lo
	s_and_saveexec_b32 s59, s58
	s_cbranch_execz .LBB8_154
	s_branch .LBB8_158
	.p2align	6
.LBB8_157:                              ;   in Loop: Header=BB8_155 Depth=2
	s_trap 2
	ds_read_b64 v[2:3], v0
	s_andn2_b32 s58, s58, exec_lo
	s_mov_b32 s57, 0
	s_waitcnt lgkmcnt(0)
	flat_load_dword v2, v[2:3] glc dlc
	s_waitcnt vmcnt(0) lgkmcnt(0)
	buffer_gl1_inv
	buffer_gl0_inv
	v_cmp_eq_u32_e32 vcc_lo, 0, v2
	s_and_b32 s59, vcc_lo, exec_lo
	s_or_b32 s58, s58, s59
	s_mov_b32 s60, -1
	s_or_b32 s56, s56, exec_lo
	s_and_saveexec_b32 s59, s58
	s_cbranch_execz .LBB8_154
.LBB8_158:                              ;   in Loop: Header=BB8_155 Depth=2
	s_sleep 1
	s_trap 2
	ds_read_b64 v[2:3], v0
	s_waitcnt lgkmcnt(0)
	buffer_gl0_inv
	s_andn2_b32 s56, s56, exec_lo
	v_cmp_ge_u64_e32 vcc_lo, v[2:3], v[24:25]
	s_orn2_b32 s60, vcc_lo, exec_lo
	s_branch .LBB8_154
.LBB8_159:                              ;   in Loop: Header=BB8_77 Depth=1
	s_inst_prefetch 0x2
	s_or_b32 exec_lo, exec_lo, s23
	s_and_saveexec_b32 s23, s46
	s_xor_b32 s23, exec_lo, s23
	s_cbranch_execz .LBB8_161
; %bb.160:                              ;   in Loop: Header=BB8_77 Depth=1
	ds_write_b32 v0, v66
	s_trap 2
.LBB8_161:                              ;   in Loop: Header=BB8_77 Depth=1
	s_or_b32 exec_lo, exec_lo, s22
	;;#ASMSTART
	s_wakeup
	;;#ASMEND
.LBB8_162:                              ;   in Loop: Header=BB8_77 Depth=1
	s_or_b32 exec_lo, exec_lo, s21
.LBB8_163:                              ;   in Loop: Header=BB8_77 Depth=1
	s_andn2_saveexec_b32 s20, s20
	s_cbranch_execz .LBB8_165
; %bb.164:                              ;   in Loop: Header=BB8_77 Depth=1
	s_waitcnt vmcnt(0) lgkmcnt(0)
	s_waitcnt_vscnt null, 0x0
	buffer_gl1_inv
	buffer_gl0_inv
	s_barrier
.LBB8_165:                              ;   in Loop: Header=BB8_77 Depth=1
	s_or_b32 exec_lo, exec_lo, s20
.LBB8_166:                              ;   in Loop: Header=BB8_77 Depth=1
	s_or_b32 exec_lo, exec_lo, s19
	s_trap 2
	ds_read_b32 v10, v0
	v_and_b32_e32 v2, 0x4000, v52
	v_cmp_ne_u32_e32 vcc_lo, 0, v2
	s_and_b32 s20, s42, vcc_lo
	s_and_saveexec_b32 s19, s20
	s_cbranch_execz .LBB8_204
; %bb.167:                              ;   in Loop: Header=BB8_77 Depth=1
	s_and_saveexec_b32 s20, s27
	s_xor_b32 s20, exec_lo, s20
	s_cbranch_execz .LBB8_201
; %bb.168:                              ;   in Loop: Header=BB8_77 Depth=1
	s_and_saveexec_b32 s21, s12
	s_cbranch_execz .LBB8_200
; %bb.169:                              ;   in Loop: Header=BB8_77 Depth=1
	s_mov_b32 s23, exec_lo
	s_mov_b32 s22, exec_lo
	v_mbcnt_lo_u32_b32 v2, s23, 0
	s_waitcnt vmcnt(0) lgkmcnt(0)
	s_waitcnt_vscnt null, 0x0
	buffer_gl1_inv
	buffer_gl0_inv
	v_cmpx_eq_u32_e32 0, v2
	s_cbranch_execz .LBB8_171
; %bb.170:                              ;   in Loop: Header=BB8_77 Depth=1
	s_bcnt1_i32_b32 s23, s23
	v_mov_b32_e32 v3, v1
	v_mov_b32_e32 v2, s23
	ds_add_u64 v0, v[2:3]
	s_trap 2
.LBB8_171:                              ;   in Loop: Header=BB8_77 Depth=1
	s_or_b32 exec_lo, exec_lo, s22
	s_trap 2
	ds_read_b64 v[2:3], v0
	s_waitcnt lgkmcnt(0)
	buffer_gl0_inv
	v_add_co_u32 v24, vcc_lo, v24, v55
	v_add_co_ci_u32_e64 v25, null, 0, v25, vcc_lo
	s_mov_b32 s22, exec_lo
	v_cmpx_lt_u64_e64 v[2:3], v[24:25]
	s_cbranch_execz .LBB8_199
; %bb.172:                              ;   in Loop: Header=BB8_77 Depth=1
	s_mov_b32 s23, 0
	s_mov_b32 s56, 0
                                        ; implicit-def: $sgpr46
                                        ; implicit-def: $sgpr47
	s_inst_prefetch 0x1
	s_branch .LBB8_174
	.p2align	6
.LBB8_173:                              ;   in Loop: Header=BB8_174 Depth=2
	s_or_b32 exec_lo, exec_lo, s58
	s_and_b32 s57, exec_lo, s59
	s_or_b32 s23, s57, s23
	s_andn2_b32 s46, s46, exec_lo
	s_and_b32 s57, s47, exec_lo
	s_or_b32 s46, s46, s57
	s_andn2_b32 exec_lo, exec_lo, s23
	s_cbranch_execz .LBB8_197
.LBB8_174:                              ;   Parent Loop BB8_77 Depth=1
                                        ; =>  This Inner Loop Header: Depth=2
	s_add_i32 s56, s56, 1
	s_cmpk_lg_i32 s56, 0x2710
	s_cselect_b32 s57, -1, 0
	s_and_b32 vcc_lo, exec_lo, s57
	s_cbranch_vccz .LBB8_176
; %bb.175:                              ;   in Loop: Header=BB8_174 Depth=2
	s_mov_b32 s59, -1
	s_or_b32 s47, s47, exec_lo
	s_and_saveexec_b32 s58, s57
	s_cbranch_execz .LBB8_173
	s_branch .LBB8_177
	.p2align	6
.LBB8_176:                              ;   in Loop: Header=BB8_174 Depth=2
	s_trap 2
	ds_read_b64 v[2:3], v0
	s_andn2_b32 s57, s57, exec_lo
	s_mov_b32 s56, 0
	s_waitcnt lgkmcnt(0)
	flat_load_dword v2, v[2:3] glc dlc
	s_waitcnt vmcnt(0) lgkmcnt(0)
	buffer_gl1_inv
	buffer_gl0_inv
	v_cmp_eq_u32_e32 vcc_lo, 0, v2
	s_and_b32 s58, vcc_lo, exec_lo
	s_or_b32 s57, s57, s58
	s_mov_b32 s59, -1
	s_or_b32 s47, s47, exec_lo
	s_and_saveexec_b32 s58, s57
	s_cbranch_execz .LBB8_173
.LBB8_177:                              ;   in Loop: Header=BB8_174 Depth=2
	s_sleep 1
	s_trap 2
	ds_read_b64 v[2:3], v0
	s_waitcnt lgkmcnt(0)
	buffer_gl0_inv
	s_andn2_b32 s47, s47, exec_lo
	v_cmp_ge_u64_e32 vcc_lo, v[2:3], v[24:25]
	s_orn2_b32 s59, vcc_lo, exec_lo
	s_branch .LBB8_173
.LBB8_178:                              ;   in Loop: Header=BB8_77 Depth=1
	s_inst_prefetch 0x2
	s_or_b32 exec_lo, exec_lo, s23
	s_and_saveexec_b32 s23, s47
	s_xor_b32 s23, exec_lo, s23
	s_cbranch_execz .LBB8_180
; %bb.179:                              ;   in Loop: Header=BB8_77 Depth=1
	ds_write_b32 v0, v66
	s_trap 2
.LBB8_180:                              ;   in Loop: Header=BB8_77 Depth=1
	s_or_b32 exec_lo, exec_lo, s22
	;;#ASMSTART
	s_wakeup
	;;#ASMEND
.LBB8_181:                              ;   in Loop: Header=BB8_77 Depth=1
	s_or_b32 exec_lo, exec_lo, s21
.LBB8_182:                              ;   in Loop: Header=BB8_77 Depth=1
	s_andn2_saveexec_b32 s20, s20
	s_cbranch_execz .LBB8_184
; %bb.183:                              ;   in Loop: Header=BB8_77 Depth=1
	s_waitcnt vmcnt(0) lgkmcnt(0)
	s_waitcnt_vscnt null, 0x0
	buffer_gl1_inv
	buffer_gl0_inv
	s_barrier
.LBB8_184:                              ;   in Loop: Header=BB8_77 Depth=1
	s_or_b32 exec_lo, exec_lo, s20
.LBB8_185:                              ;   in Loop: Header=BB8_77 Depth=1
	s_or_b32 exec_lo, exec_lo, s19
	s_trap 2
	ds_read_b32 v10, v0
	v_and_b32_e32 v2, 0x4000, v52
	v_cmp_ne_u32_e32 vcc_lo, 0, v2
	s_and_b32 s20, s42, vcc_lo
	s_and_saveexec_b32 s19, s20
	s_cbranch_execz .LBB8_292
; %bb.186:                              ;   in Loop: Header=BB8_77 Depth=1
	s_and_saveexec_b32 s20, s27
	s_xor_b32 s20, exec_lo, s20
	s_cbranch_execz .LBB8_289
; %bb.187:                              ;   in Loop: Header=BB8_77 Depth=1
	s_and_saveexec_b32 s21, s12
	s_cbranch_execz .LBB8_288
; %bb.188:                              ;   in Loop: Header=BB8_77 Depth=1
	s_mov_b32 s23, exec_lo
	s_mov_b32 s22, exec_lo
	v_mbcnt_lo_u32_b32 v2, s23, 0
	s_waitcnt vmcnt(0) lgkmcnt(0)
	s_waitcnt_vscnt null, 0x0
	buffer_gl1_inv
	buffer_gl0_inv
	v_cmpx_eq_u32_e32 0, v2
	s_cbranch_execz .LBB8_190
; %bb.189:                              ;   in Loop: Header=BB8_77 Depth=1
	s_bcnt1_i32_b32 s23, s23
	v_mov_b32_e32 v3, v1
	v_mov_b32_e32 v2, s23
	ds_add_u64 v0, v[2:3]
	s_trap 2
.LBB8_190:                              ;   in Loop: Header=BB8_77 Depth=1
	s_or_b32 exec_lo, exec_lo, s22
	s_trap 2
	ds_read_b64 v[2:3], v0
	s_waitcnt lgkmcnt(0)
	buffer_gl0_inv
	v_add_co_u32 v24, vcc_lo, v24, v55
	v_add_co_ci_u32_e64 v25, null, 0, v25, vcc_lo
	s_mov_b32 s22, exec_lo
	v_cmpx_lt_u64_e64 v[2:3], v[24:25]
	s_cbranch_execz .LBB8_287
; %bb.191:                              ;   in Loop: Header=BB8_77 Depth=1
	s_mov_b32 s23, 0
	s_mov_b32 s57, 0
                                        ; implicit-def: $sgpr47
                                        ; implicit-def: $sgpr56
	s_inst_prefetch 0x1
	s_branch .LBB8_193
	.p2align	6
.LBB8_192:                              ;   in Loop: Header=BB8_193 Depth=2
	s_or_b32 exec_lo, exec_lo, s59
	s_and_b32 s58, exec_lo, s60
	s_or_b32 s23, s58, s23
	s_andn2_b32 s47, s47, exec_lo
	s_and_b32 s58, s56, exec_lo
	s_or_b32 s47, s47, s58
	s_andn2_b32 exec_lo, exec_lo, s23
	s_cbranch_execz .LBB8_285
.LBB8_193:                              ;   Parent Loop BB8_77 Depth=1
                                        ; =>  This Inner Loop Header: Depth=2
	s_add_i32 s57, s57, 1
	s_cmpk_lg_i32 s57, 0x2710
	s_cselect_b32 s58, -1, 0
	s_and_b32 vcc_lo, exec_lo, s58
	s_cbranch_vccz .LBB8_195
; %bb.194:                              ;   in Loop: Header=BB8_193 Depth=2
	s_mov_b32 s60, -1
	s_or_b32 s56, s56, exec_lo
	s_and_saveexec_b32 s59, s58
	s_cbranch_execz .LBB8_192
	s_branch .LBB8_196
	.p2align	6
.LBB8_195:                              ;   in Loop: Header=BB8_193 Depth=2
	s_trap 2
	ds_read_b64 v[2:3], v0
	s_andn2_b32 s58, s58, exec_lo
	s_mov_b32 s57, 0
	s_waitcnt lgkmcnt(0)
	flat_load_dword v2, v[2:3] glc dlc
	s_waitcnt vmcnt(0) lgkmcnt(0)
	buffer_gl1_inv
	buffer_gl0_inv
	v_cmp_eq_u32_e32 vcc_lo, 0, v2
	s_and_b32 s59, vcc_lo, exec_lo
	s_or_b32 s58, s58, s59
	s_mov_b32 s60, -1
	s_or_b32 s56, s56, exec_lo
	s_and_saveexec_b32 s59, s58
	s_cbranch_execz .LBB8_192
.LBB8_196:                              ;   in Loop: Header=BB8_193 Depth=2
	s_sleep 1
	s_trap 2
	ds_read_b64 v[2:3], v0
	s_waitcnt lgkmcnt(0)
	buffer_gl0_inv
	s_andn2_b32 s56, s56, exec_lo
	v_cmp_ge_u64_e32 vcc_lo, v[2:3], v[24:25]
	s_orn2_b32 s60, vcc_lo, exec_lo
	s_branch .LBB8_192
.LBB8_197:                              ;   in Loop: Header=BB8_77 Depth=1
	s_inst_prefetch 0x2
	s_or_b32 exec_lo, exec_lo, s23
	s_and_saveexec_b32 s23, s46
	s_xor_b32 s23, exec_lo, s23
	s_cbranch_execz .LBB8_199
; %bb.198:                              ;   in Loop: Header=BB8_77 Depth=1
	ds_write_b32 v0, v66
	s_trap 2
.LBB8_199:                              ;   in Loop: Header=BB8_77 Depth=1
	s_or_b32 exec_lo, exec_lo, s22
	;;#ASMSTART
	s_wakeup
	;;#ASMEND
.LBB8_200:                              ;   in Loop: Header=BB8_77 Depth=1
	s_or_b32 exec_lo, exec_lo, s21
.LBB8_201:                              ;   in Loop: Header=BB8_77 Depth=1
	s_andn2_saveexec_b32 s20, s20
	s_cbranch_execz .LBB8_203
; %bb.202:                              ;   in Loop: Header=BB8_77 Depth=1
	s_waitcnt vmcnt(0) lgkmcnt(0)
	s_waitcnt_vscnt null, 0x0
	buffer_gl1_inv
	buffer_gl0_inv
	s_barrier
.LBB8_203:                              ;   in Loop: Header=BB8_77 Depth=1
	s_or_b32 exec_lo, exec_lo, s20
.LBB8_204:                              ;   in Loop: Header=BB8_77 Depth=1
	s_or_b32 exec_lo, exec_lo, s19
	s_trap 2
	ds_read_b64 v[2:3], v0
	s_waitcnt lgkmcnt(0)
	v_cmp_eq_u64_e32 vcc_lo, 0, v[2:3]
	s_cbranch_vccnz .LBB8_273
; %bb.205:                              ;   in Loop: Header=BB8_77 Depth=1
	s_trap 2
	ds_read_b64 v[37:38], v0
	s_waitcnt lgkmcnt(0)
	v_cmp_eq_u64_e32 vcc_lo, 0, v[37:38]
	s_cbranch_vccnz .LBB8_273
; %bb.206:                              ;   in Loop: Header=BB8_77 Depth=1
	s_trap 2
	ds_read_b64 v[48:49], v0
	v_cmp_eq_u32_e64 s19, 0, v10
	v_cndmask_b32_e64 v102, 0, v36, s19
	s_mov_b32 s19, -1
	s_waitcnt lgkmcnt(0)
	v_cmp_ne_u64_e32 vcc_lo, 0, v[48:49]
	s_cbranch_vccz .LBB8_239
; %bb.207:                              ;   in Loop: Header=BB8_77 Depth=1
	s_and_saveexec_b32 s20, s13
	s_cbranch_execz .LBB8_209
; %bb.208:                              ;   in Loop: Header=BB8_77 Depth=1
	ds_read_b32 v10, v0 offset:720
	s_waitcnt lgkmcnt(0)
	v_and_b32_e32 v10, 15, v10
	v_cmp_eq_u32_e32 vcc_lo, 0, v10
	s_orn2_b32 s19, vcc_lo, exec_lo
.LBB8_209:                              ;   in Loop: Header=BB8_77 Depth=1
	s_or_b32 exec_lo, exec_lo, s20
	s_and_saveexec_b32 s20, s14
	s_cbranch_execz .LBB8_211
; %bb.210:                              ;   in Loop: Header=BB8_77 Depth=1
	ds_read_b32 v10, v0 offset:784
	s_waitcnt lgkmcnt(0)
	v_and_b32_e32 v10, 15, v10
	v_cmp_eq_u32_e32 vcc_lo, 0, v10
	s_and_b32 s21, s19, vcc_lo
	s_andn2_b32 s19, s19, exec_lo
	s_and_b32 s21, s21, exec_lo
	s_or_b32 s19, s19, s21
.LBB8_211:                              ;   in Loop: Header=BB8_77 Depth=1
	s_or_b32 exec_lo, exec_lo, s20
	s_xor_b32 s19, s19, -1
	v_mov_b32_e32 v50, 0
	v_cndmask_b32_e64 v10, 0, 1, s19
	v_mov_b32_e32 v51, v102
	v_mov_b32_e32 v103, v0
	s_mov_b32 s19, -1
	v_cmp_ne_u32_e32 vcc_lo, 0, v10
	v_mov_b32_e32 v10, v81
	s_cbranch_vccnz .LBB8_227
; %bb.212:                              ;   in Loop: Header=BB8_77 Depth=1
	v_ashrrev_i32_e32 v10, 31, v102
	s_mov_b32 s20, exec_lo
	v_lshrrev_b32_e32 v10, 22, v10
	v_add_nc_u32_e32 v10, v102, v10
	v_ashrrev_i32_e32 v103, 10, v10
	v_sub_nc_u32_e32 v113, v103, v81
	v_cmpx_lt_i32_e32 0, v113
	s_cbranch_execz .LBB8_216
; %bb.213:                              ;   in Loop: Header=BB8_77 Depth=1
	v_add_co_u32 v10, vcc_lo, v2, v87
	v_add_co_ci_u32_e64 v11, null, v3, v99, vcc_lo
	v_add_co_u32 v12, vcc_lo, v37, v87
	v_add_co_ci_u32_e64 v13, null, v38, v99, vcc_lo
	;; [unrolled: 2-line block ×3, first 2 shown]
	s_mov_b32 s21, 0
	.p2align	6
.LBB8_214:                              ;   Parent Loop BB8_77 Depth=1
                                        ; =>  This Inner Loop Header: Depth=2
	s_clause 0x1
	global_load_dwordx4 v[114:117], v[10:11], off slc
	global_load_dwordx4 v[40:43], v[10:11], off offset:512 slc
	v_sub_nc_u32_e32 v113, v113, v55
	v_add_co_u32 v10, vcc_lo, v10, v69
	v_add_co_ci_u32_e64 v11, null, 0, v11, vcc_lo
	v_cmp_gt_i32_e32 vcc_lo, 1, v113
	s_waitcnt vmcnt(1)
	global_store_dwordx4 v[12:13], v[114:117], off glc slc
	s_waitcnt vmcnt(0)
	global_store_dwordx4 v[12:13], v[40:43], off offset:512 glc slc
	global_store_dwordx4 v[50:51], v[114:117], off glc slc
	global_store_dwordx4 v[50:51], v[40:43], off offset:512 glc slc
	v_add_co_u32 v12, s19, v12, v69
	v_add_co_ci_u32_e64 v13, null, 0, v13, s19
	v_add_co_u32 v50, s19, v50, v69
	v_add_co_ci_u32_e64 v51, null, 0, v51, s19
	s_or_b32 s21, vcc_lo, s21
	s_andn2_b32 exec_lo, exec_lo, s21
	s_cbranch_execnz .LBB8_214
; %bb.215:                              ;   in Loop: Header=BB8_77 Depth=1
	s_or_b32 exec_lo, exec_lo, s21
.LBB8_216:                              ;   in Loop: Header=BB8_77 Depth=1
	s_or_b32 exec_lo, exec_lo, s20
	v_lshlrev_b32_e32 v112, 10, v103
	v_mov_b32_e32 v50, 0
	s_mov_b32 s19, 0
	s_mov_b32 s46, exec_lo
                                        ; implicit-def: $vgpr51
                                        ; implicit-def: $vgpr103
                                        ; implicit-def: $vgpr10
	v_cmpx_ne_u32_e64 v102, v112
	s_cbranch_execz .LBB8_226
; %bb.217:                              ;   in Loop: Header=BB8_77 Depth=1
	v_lshlrev_b32_e32 v10, 5, v113
	v_sub_nc_u32_e32 v12, v102, v112
	s_mov_b32 s47, exec_lo
	v_sub_nc_u32_e32 v10, v84, v10
	v_ashrrev_i32_e32 v13, 31, v12
	v_ashrrev_i32_e32 v11, 31, v10
	v_lshrrev_b32_e32 v13, 23, v13
	v_lshrrev_b32_e32 v11, 27, v11
	v_add_nc_u32_e32 v13, v12, v13
	v_add_nc_u32_e32 v11, v10, v11
	v_and_b32_e32 v113, 0xfffffe00, v13
	v_ashrrev_i32_e32 v13, 9, v13
	v_and_b32_e32 v50, 0xffffffe0, v11
	v_sub_nc_u32_e32 v115, v12, v113
	v_ashrrev_i32_e32 v11, 5, v11
	v_sub_nc_u32_e32 v114, v10, v50
	v_cmp_lt_i32_e64 s19, 15, v115
	v_lshlrev_b32_e32 v10, 4, v114
	v_add_co_ci_u32_e64 v13, null, 0, v13, s19
	v_lshl_add_u32 v10, v11, 9, v10
	v_sub_nc_u32_e32 v116, v13, v11
	v_sub_nc_u32_e32 v103, v12, v10
	v_cmpx_lt_i32_e32 15, v103
	s_cbranch_execz .LBB8_223
; %bb.218:                              ;   in Loop: Header=BB8_77 Depth=1
	v_add_nc_u32_e32 v10, v10, v112
	s_mov_b32 s56, 0
	v_ashrrev_i32_e32 v11, 31, v10
	v_add_co_u32 v50, vcc_lo, v10, v2
	v_add_co_ci_u32_e64 v51, null, v11, v3, vcc_lo
	v_add_co_u32 v117, vcc_lo, v10, v37
	v_add_co_ci_u32_e64 v118, null, v11, v38, vcc_lo
	;; [unrolled: 2-line block ×3, first 2 shown]
	s_inst_prefetch 0x1
	.p2align	6
.LBB8_219:                              ;   Parent Loop BB8_77 Depth=1
                                        ; =>  This Loop Header: Depth=2
                                        ;       Child Loop BB8_220 Depth 3
	global_load_dwordx4 v[10:13], v[50:51], off slc
	s_mov_b64 s[22:23], 0
	s_mov_b32 s57, -1
	.p2align	6
.LBB8_220:                              ;   Parent Loop BB8_77 Depth=1
                                        ;     Parent Loop BB8_219 Depth=2
                                        ; =>    This Inner Loop Header: Depth=3
	s_cmp_eq_u32 s22, 1
	s_cselect_b32 vcc_lo, -1, 0
	s_cmp_eq_u32 s22, 0
	v_cndmask_b32_e32 v41, v117, v119, vcc_lo
	v_cndmask_b32_e32 v42, v118, v40, vcc_lo
	s_mov_b64 s[22:23], 1
	v_add_co_u32 v43, s20, 0x200, v41
	v_add_co_ci_u32_e64 v44, null, 0, v42, s20
	s_cselect_b32 s20, -1, 0
	v_cndmask_b32_e32 v119, v119, v43, vcc_lo
	v_cndmask_b32_e64 v117, v117, v43, s20
	v_cndmask_b32_e32 v40, v40, v44, vcc_lo
	v_cndmask_b32_e64 v118, v118, v44, s20
	s_and_b32 s21, exec_lo, s57
	s_mov_b32 s57, 0
	s_mov_b32 vcc_lo, s21
	s_waitcnt vmcnt(0)
	global_store_dwordx4 v[41:42], v[10:13], off glc slc
	s_cbranch_vccnz .LBB8_220
; %bb.221:                              ;   in Loop: Header=BB8_219 Depth=2
	v_sub_nc_u32_e32 v103, v103, v68
	v_add_co_u32 v117, vcc_lo, v117, v80
	v_add_co_ci_u32_e64 v118, null, v118, v83, vcc_lo
	v_add_co_u32 v119, vcc_lo, v119, v80
	v_add_co_ci_u32_e64 v40, null, v40, v83, vcc_lo
	v_cmp_gt_i32_e32 vcc_lo, 16, v103
	v_add_co_u32 v50, s20, v96, v50
	v_add_co_ci_u32_e64 v51, null, v97, v51, s20
	v_sub_nc_u32_e32 v116, v116, v55
	s_or_b32 s56, vcc_lo, s56
	s_andn2_b32 exec_lo, exec_lo, s56
	s_cbranch_execnz .LBB8_219
; %bb.222:                              ;   in Loop: Header=BB8_77 Depth=1
	s_inst_prefetch 0x2
	s_or_b32 exec_lo, exec_lo, s56
.LBB8_223:                              ;   in Loop: Header=BB8_77 Depth=1
	s_or_b32 exec_lo, exec_lo, s47
	v_and_b32_e32 v11, 15, v102
	v_mov_b32_e32 v50, 0
	s_mov_b32 s20, 0
	s_mov_b32 s21, exec_lo
                                        ; implicit-def: $vgpr103
                                        ; implicit-def: $vgpr10
	v_cndmask_b32_e64 v51, v115, v11, s19
	v_cmpx_ne_u32_e32 0, v51
	s_cbranch_execz .LBB8_225
; %bb.224:                              ;   in Loop: Header=BB8_77 Depth=1
	v_cmp_lt_i32_e32 vcc_lo, 0, v116
	v_sub_nc_u32_e32 v11, v115, v11
	s_mov_b32 s20, exec_lo
	v_cndmask_b32_e32 v10, 0, v55, vcc_lo
	v_cndmask_b32_e64 v11, 0, v11, s19
	v_sub_nc_u32_e32 v10, v10, v116
	v_add3_u32 v50, v113, v112, v11
	v_lshl_add_u32 v103, v10, 5, v114
	v_ashrrev_i32_e32 v10, 31, v103
	v_lshrrev_b32_e32 v10, 27, v10
	v_add_nc_u32_e32 v10, v103, v10
	v_ashrrev_i32_e32 v10, 5, v10
.LBB8_225:                              ;   in Loop: Header=BB8_77 Depth=1
	s_or_b32 exec_lo, exec_lo, s21
	s_and_b32 s19, s20, exec_lo
.LBB8_226:                              ;   in Loop: Header=BB8_77 Depth=1
	s_or_b32 exec_lo, exec_lo, s46
.LBB8_227:                              ;   in Loop: Header=BB8_77 Depth=1
	s_and_saveexec_b32 s21, s19
	s_cbranch_execz .LBB8_238
; %bb.228:                              ;   in Loop: Header=BB8_77 Depth=1
	v_ashrrev_i32_e32 v11, 31, v51
	v_ashrrev_i32_e32 v113, 31, v103
	s_mov_b32 s20, exec_lo
	v_lshrrev_b32_e32 v11, 23, v11
	v_add_nc_u32_e32 v11, v51, v11
	v_ashrrev_i32_e32 v114, 9, v11
	v_sub_nc_u32_e32 v112, v114, v10
	v_cmpx_lt_i32_e32 0, v112
	s_cbranch_execz .LBB8_232
; %bb.229:                              ;   in Loop: Header=BB8_77 Depth=1
	v_lshrrev_b32_e32 v11, 27, v113
	v_lshlrev_b32_e32 v10, 9, v10
	v_add_co_u32 v117, vcc_lo, 0x1e0, v2
	v_add_co_ci_u32_e64 v118, null, 0, v3, vcc_lo
	v_add_nc_u32_e32 v11, v103, v11
	s_mov_b32 s22, 0
	v_and_b32_e32 v11, 0xffffffe0, v11
	v_sub_nc_u32_e32 v11, v103, v11
	v_add3_u32 v115, v50, v11, v10
	v_ashrrev_i32_e32 v116, 31, v115
	v_add_co_u32 v10, vcc_lo, v115, v37
	v_add_co_ci_u32_e64 v11, null, v116, v38, vcc_lo
	v_add_co_u32 v12, vcc_lo, v115, v48
	v_add_co_ci_u32_e64 v13, null, v116, v49, vcc_lo
	;; [unrolled: 2-line block ×3, first 2 shown]
.LBB8_230:                              ;   Parent Loop BB8_77 Depth=1
                                        ; =>  This Inner Loop Header: Depth=2
	v_add_co_u32 v115, vcc_lo, 0xfffffe20, v48
	v_add_co_ci_u32_e64 v116, null, -1, v49, vcc_lo
	v_add_co_u32 v117, vcc_lo, 0xfffffe40, v48
	v_add_co_ci_u32_e64 v118, null, -1, v49, vcc_lo
	;; [unrolled: 2-line block ×15, first 2 shown]
	flat_load_ubyte v119, v[48:49] slc
	flat_load_ubyte v115, v[115:116] slc
	;; [unrolled: 1-line block ×16, first 2 shown]
	v_sub_nc_u32_e32 v112, v112, v55
	v_add_co_u32 v48, vcc_lo, v48, v96
	v_add_co_ci_u32_e64 v49, null, v49, v97, vcc_lo
	v_cmp_gt_i32_e32 vcc_lo, 1, v112
	s_waitcnt vmcnt(15) lgkmcnt(15)
	flat_store_byte v[10:11], v119 offset:480 glc slc
	s_waitcnt vmcnt(14) lgkmcnt(15)
	flat_store_byte v[10:11], v115 glc slc
	s_waitcnt vmcnt(13) lgkmcnt(15)
	flat_store_byte v[10:11], v116 offset:32 glc slc
	s_waitcnt vmcnt(12) lgkmcnt(15)
	flat_store_byte v[10:11], v117 offset:64 glc slc
	;; [unrolled: 2-line block ×14, first 2 shown]
	flat_store_byte v[12:13], v115 glc slc
	flat_store_byte v[12:13], v116 offset:32 glc slc
	flat_store_byte v[12:13], v117 offset:64 glc slc
	;; [unrolled: 1-line block ×15, first 2 shown]
	v_add_co_u32 v10, s19, v10, v68
	v_add_co_ci_u32_e64 v11, null, 0, v11, s19
	v_add_co_u32 v12, s19, v12, v68
	v_add_co_ci_u32_e64 v13, null, 0, v13, s19
	s_or_b32 s22, vcc_lo, s22
	s_andn2_b32 exec_lo, exec_lo, s22
	s_cbranch_execnz .LBB8_230
; %bb.231:                              ;   in Loop: Header=BB8_77 Depth=1
	s_or_b32 exec_lo, exec_lo, s22
.LBB8_232:                              ;   in Loop: Header=BB8_77 Depth=1
	s_or_b32 exec_lo, exec_lo, s20
	v_lshlrev_b32_e32 v10, 9, v114
	v_cmp_ne_u32_e32 vcc_lo, v51, v10
	s_and_b32 exec_lo, exec_lo, vcc_lo
	s_cbranch_execz .LBB8_238
; %bb.233:                              ;   in Loop: Header=BB8_77 Depth=1
	v_lshrrev_b32_e32 v11, 27, v113
	v_lshlrev_b32_e32 v12, 5, v112
	v_add_nc_u32_e32 v11, v103, v11
	v_and_b32_e32 v11, 0xffffffe0, v11
	v_sub_nc_u32_e32 v11, v103, v11
	v_sub_nc_u32_e32 v11, v11, v12
	v_add_nc_u32_e32 v10, v10, v11
	v_sub_nc_u32_e32 v12, v51, v10
	v_cmp_lt_i32_e32 vcc_lo, 0, v12
	s_and_b32 exec_lo, exec_lo, vcc_lo
	s_cbranch_execz .LBB8_238
; %bb.234:                              ;   in Loop: Header=BB8_77 Depth=1
	s_trap 2
	ds_read_b64 v[48:49], v0
	ds_read_b128 v[112:115], v0
	v_add_nc_u32_e32 v50, v10, v50
	s_mov_b32 s46, 0
	v_ashrrev_i32_e32 v51, 31, v50
	s_waitcnt lgkmcnt(1)
	v_add_co_u32 v10, vcc_lo, v48, v50
	v_add_co_ci_u32_e64 v11, null, v49, v51, vcc_lo
	s_waitcnt lgkmcnt(0)
	v_add_co_u32 v13, vcc_lo, v112, v50
	v_add_co_ci_u32_e64 v48, null, v113, v51, vcc_lo
	v_add_co_u32 v49, vcc_lo, v114, v50
	v_add_co_ci_u32_e64 v50, null, v115, v51, vcc_lo
	s_inst_prefetch 0x1
	.p2align	6
.LBB8_235:                              ;   Parent Loop BB8_77 Depth=1
                                        ; =>  This Loop Header: Depth=2
                                        ;       Child Loop BB8_236 Depth 3
	flat_load_ubyte v51, v[10:11] slc
	s_mov_b64 s[22:23], 0
	s_mov_b32 s47, -1
	.p2align	6
.LBB8_236:                              ;   Parent Loop BB8_77 Depth=1
                                        ;     Parent Loop BB8_235 Depth=2
                                        ; =>    This Inner Loop Header: Depth=3
	s_cmp_eq_u32 s22, 1
	s_cselect_b32 vcc_lo, -1, 0
	s_cmp_eq_u32 s22, 0
	v_cndmask_b32_e32 v112, v13, v49, vcc_lo
	v_cndmask_b32_e32 v113, v48, v50, vcc_lo
	s_mov_b64 s[22:23], 1
	v_add_co_u32 v103, s19, v112, 32
	v_add_co_ci_u32_e64 v114, null, 0, v113, s19
	s_cselect_b32 s19, -1, 0
	v_cndmask_b32_e32 v49, v49, v103, vcc_lo
	v_cndmask_b32_e64 v13, v13, v103, s19
	v_cndmask_b32_e32 v50, v50, v114, vcc_lo
	v_cndmask_b32_e64 v48, v48, v114, s19
	s_and_b32 s20, exec_lo, s47
	s_mov_b32 s47, 0
	s_mov_b32 vcc_lo, s20
	s_waitcnt vmcnt(0) lgkmcnt(0)
	flat_store_byte v[112:113], v51 glc slc
	s_cbranch_vccnz .LBB8_236
; %bb.237:                              ;   in Loop: Header=BB8_235 Depth=2
	v_sub_nc_u32_e32 v12, v12, v64
	v_add_co_u32 v13, vcc_lo, v13, v70
	v_add_co_ci_u32_e64 v48, null, v48, v82, vcc_lo
	v_add_co_u32 v49, vcc_lo, v49, v70
	v_add_co_ci_u32_e64 v50, null, v50, v82, vcc_lo
	v_cmp_gt_i32_e32 vcc_lo, 1, v12
	v_add_co_u32 v10, s19, v85, v10
	v_add_co_ci_u32_e64 v11, null, v86, v11, s19
	s_or_b32 s46, vcc_lo, s46
	s_andn2_b32 exec_lo, exec_lo, s46
	s_cbranch_execnz .LBB8_235
.LBB8_238:                              ;   in Loop: Header=BB8_77 Depth=1
	s_inst_prefetch 0x2
	s_or_b32 exec_lo, exec_lo, s21
	s_mov_b32 s19, 0
.LBB8_239:                              ;   in Loop: Header=BB8_77 Depth=1
	s_and_b32 vcc_lo, exec_lo, s19
	s_cbranch_vccz .LBB8_268
; %bb.240:                              ;   in Loop: Header=BB8_77 Depth=1
	s_mov_b32 s19, -1
	s_and_saveexec_b32 s20, s13
	s_cbranch_execz .LBB8_242
; %bb.241:                              ;   in Loop: Header=BB8_77 Depth=1
	ds_read_b32 v10, v0 offset:720
	s_waitcnt lgkmcnt(0)
	v_and_b32_e32 v10, 15, v10
	v_cmp_eq_u32_e32 vcc_lo, 0, v10
	s_orn2_b32 s19, vcc_lo, exec_lo
.LBB8_242:                              ;   in Loop: Header=BB8_77 Depth=1
	s_or_b32 exec_lo, exec_lo, s20
	s_and_saveexec_b32 s20, s16
	s_cbranch_execz .LBB8_244
; %bb.243:                              ;   in Loop: Header=BB8_77 Depth=1
	ds_read_b32 v10, v0 offset:784
	s_waitcnt lgkmcnt(0)
	v_and_b32_e32 v10, 15, v10
	v_cmp_eq_u32_e32 vcc_lo, 0, v10
	s_and_b32 s21, s19, vcc_lo
	s_andn2_b32 s19, s19, exec_lo
	s_and_b32 s21, s21, exec_lo
	s_or_b32 s19, s19, s21
.LBB8_244:                              ;   in Loop: Header=BB8_77 Depth=1
	s_or_b32 exec_lo, exec_lo, s20
	s_xor_b32 s19, s19, -1
	v_mov_b32_e32 v10, 0
	v_cndmask_b32_e64 v11, 0, 1, s19
	v_mov_b32_e32 v12, v0
	v_mov_b32_e32 v103, v81
	s_mov_b32 s19, -1
	v_cmp_ne_u32_e32 vcc_lo, 0, v11
	v_mov_b32_e32 v11, v102
	s_cbranch_vccnz .LBB8_258
; %bb.245:                              ;   in Loop: Header=BB8_77 Depth=1
	v_ashrrev_i32_e32 v10, 31, v102
	s_mov_b32 s20, exec_lo
	v_lshrrev_b32_e32 v10, 21, v10
	v_add_nc_u32_e32 v10, v102, v10
	v_ashrrev_i32_e32 v49, 11, v10
	v_sub_nc_u32_e32 v48, v49, v81
	v_cmpx_lt_i32_e32 0, v48
	s_cbranch_execz .LBB8_249
; %bb.246:                              ;   in Loop: Header=BB8_77 Depth=1
	v_mov_b32_e32 v10, v37
	v_mov_b32_e32 v13, v3
	;; [unrolled: 1-line block ×4, first 2 shown]
	s_mov_b32 s21, 0
	s_inst_prefetch 0x1
	.p2align	6
.LBB8_247:                              ;   Parent Loop BB8_77 Depth=1
                                        ; =>  This Inner Loop Header: Depth=2
	v_add_co_u32 v50, vcc_lo, v98, v12
	v_add_co_ci_u32_e64 v51, null, v100, v13, vcc_lo
	v_sub_nc_u32_e32 v48, v48, v55
	s_clause 0x3
	global_load_dwordx4 v[112:115], v[50:51], off slc
	global_load_dwordx4 v[116:119], v[50:51], off offset:512 slc
	global_load_dwordx4 v[40:43], v[50:51], off offset:1024 slc
	;; [unrolled: 1-line block ×3, first 2 shown]
	v_add_co_u32 v50, vcc_lo, v98, v10
	v_add_co_ci_u32_e64 v51, null, v100, v11, vcc_lo
	v_add_co_u32 v12, vcc_lo, v12, v71
	v_add_co_ci_u32_e64 v13, null, 0, v13, vcc_lo
	v_add_co_u32 v10, vcc_lo, v10, v71
	v_cmp_gt_i32_e64 s19, 1, v48
	v_add_co_ci_u32_e64 v11, null, 0, v11, vcc_lo
	s_waitcnt vmcnt(3)
	global_store_dwordx4 v[50:51], v[112:115], off glc slc
	s_waitcnt vmcnt(2)
	global_store_dwordx4 v[50:51], v[116:119], off offset:512 glc slc
	s_waitcnt vmcnt(1)
	global_store_dwordx4 v[50:51], v[40:43], off offset:1024 glc slc
	;; [unrolled: 2-line block ×3, first 2 shown]
	s_or_b32 s21, s19, s21
	s_andn2_b32 exec_lo, exec_lo, s21
	s_cbranch_execnz .LBB8_247
; %bb.248:                              ;   in Loop: Header=BB8_77 Depth=1
	s_inst_prefetch 0x2
	s_or_b32 exec_lo, exec_lo, s21
.LBB8_249:                              ;   in Loop: Header=BB8_77 Depth=1
	s_or_b32 exec_lo, exec_lo, s20
	v_lshlrev_b32_e32 v13, 11, v49
	v_mov_b32_e32 v10, 0
	s_mov_b32 s19, 0
	s_mov_b32 s21, exec_lo
                                        ; implicit-def: $vgpr11
                                        ; implicit-def: $vgpr12
                                        ; implicit-def: $vgpr103
	v_cmpx_ne_u32_e64 v102, v13
	s_cbranch_execz .LBB8_257
; %bb.250:                              ;   in Loop: Header=BB8_77 Depth=1
	v_lshlrev_b32_e32 v10, 5, v48
	v_sub_nc_u32_e32 v12, v102, v13
	s_mov_b32 s22, exec_lo
	v_sub_nc_u32_e32 v10, v84, v10
	v_ashrrev_i32_e32 v48, 31, v12
	v_ashrrev_i32_e32 v11, 31, v10
	v_lshrrev_b32_e32 v48, 23, v48
	v_lshrrev_b32_e32 v11, 27, v11
	v_add_nc_u32_e32 v51, v12, v48
	v_add_nc_u32_e32 v11, v10, v11
	v_and_b32_e32 v48, 0xfffffe00, v51
	v_ashrrev_i32_e32 v51, 9, v51
	v_and_b32_e32 v49, 0xffffffe0, v11
	v_sub_nc_u32_e32 v50, v12, v48
	v_ashrrev_i32_e32 v103, 5, v11
	v_sub_nc_u32_e32 v49, v10, v49
	v_cmp_lt_i32_e32 vcc_lo, 15, v50
	v_lshlrev_b32_e32 v10, 4, v49
	v_add_co_ci_u32_e64 v51, null, 0, v51, vcc_lo
	v_lshl_add_u32 v11, v103, 9, v10
	v_sub_nc_u32_e32 v51, v51, v103
	v_sub_nc_u32_e32 v10, v12, v11
	v_cmpx_lt_i32_e32 15, v10
	s_cbranch_execz .LBB8_254
; %bb.251:                              ;   in Loop: Header=BB8_77 Depth=1
	v_add_nc_u32_e32 v11, v11, v13
	s_mov_b32 s23, 0
	v_ashrrev_i32_e32 v12, 31, v11
	.p2align	6
.LBB8_252:                              ;   Parent Loop BB8_77 Depth=1
                                        ; =>  This Inner Loop Header: Depth=2
	v_add_co_u32 v112, s19, v2, v11
	v_add_co_ci_u32_e64 v113, null, v3, v12, s19
	v_sub_nc_u32_e32 v10, v10, v68
	v_add_co_u32 v116, s19, v37, v11
	global_load_dwordx4 v[112:115], v[112:113], off slc
	v_add_co_ci_u32_e64 v117, null, v38, v12, s19
	v_cmp_gt_i32_e64 s19, 16, v10
	v_add_co_u32 v11, s20, v11, v96
	v_sub_nc_u32_e32 v51, v51, v55
	v_add_co_ci_u32_e64 v12, null, v12, v97, s20
	s_or_b32 s23, s19, s23
	s_waitcnt vmcnt(0)
	global_store_dwordx4 v[116:117], v[112:115], off glc slc
	s_andn2_b32 exec_lo, exec_lo, s23
	s_cbranch_execnz .LBB8_252
; %bb.253:                              ;   in Loop: Header=BB8_77 Depth=1
	s_or_b32 exec_lo, exec_lo, s23
.LBB8_254:                              ;   in Loop: Header=BB8_77 Depth=1
	s_or_b32 exec_lo, exec_lo, s22
	v_and_b32_e32 v112, 15, v102
	v_mov_b32_e32 v10, 0
	s_mov_b32 s20, 0
	s_mov_b32 s22, exec_lo
                                        ; implicit-def: $vgpr12
                                        ; implicit-def: $vgpr103
	v_cndmask_b32_e32 v11, v50, v112, vcc_lo
	v_cmpx_ne_u32_e32 0, v11
	s_cbranch_execz .LBB8_256
; %bb.255:                              ;   in Loop: Header=BB8_77 Depth=1
	v_cmp_lt_i32_e64 s19, 0, v51
	s_mov_b32 s20, exec_lo
	v_cndmask_b32_e64 v10, 0, v55, s19
	v_sub_nc_u32_e32 v10, v10, v51
	v_lshl_add_u32 v12, v10, 5, v49
	v_sub_nc_u32_e32 v49, v50, v112
	v_ashrrev_i32_e32 v10, 31, v12
	v_cndmask_b32_e32 v49, 0, v49, vcc_lo
	v_lshrrev_b32_e32 v10, 27, v10
	v_add_nc_u32_e32 v50, v12, v10
	v_add3_u32 v10, v48, v13, v49
	v_ashrrev_i32_e32 v103, 5, v50
.LBB8_256:                              ;   in Loop: Header=BB8_77 Depth=1
	s_or_b32 exec_lo, exec_lo, s22
	s_and_b32 s19, s20, exec_lo
.LBB8_257:                              ;   in Loop: Header=BB8_77 Depth=1
	s_or_b32 exec_lo, exec_lo, s21
.LBB8_258:                              ;   in Loop: Header=BB8_77 Depth=1
	s_and_saveexec_b32 s20, s19
	s_cbranch_execz .LBB8_267
; %bb.259:                              ;   in Loop: Header=BB8_77 Depth=1
	v_ashrrev_i32_e32 v13, 31, v11
	s_mov_b32 s19, exec_lo
	v_lshrrev_b32_e32 v13, 23, v13
	v_add_nc_u32_e32 v13, v11, v13
	v_ashrrev_i32_e32 v48, 9, v13
	v_sub_nc_u32_e32 v13, v48, v103
	v_cmpx_lt_i32_e32 0, v13
	s_cbranch_execz .LBB8_263
; %bb.260:                              ;   in Loop: Header=BB8_77 Depth=1
	v_ashrrev_i32_e32 v49, 31, v12
	v_lshlrev_b32_e32 v50, 9, v103
	s_mov_b32 s21, 0
	v_lshrrev_b32_e32 v49, 27, v49
	v_add_nc_u32_e32 v49, v12, v49
	v_and_b32_e32 v49, 0xffffffe0, v49
	v_sub_nc_u32_e32 v49, v12, v49
	v_add3_u32 v49, v10, v49, v50
	v_ashrrev_i32_e32 v50, 31, v49
.LBB8_261:                              ;   Parent Loop BB8_77 Depth=1
                                        ; =>  This Inner Loop Header: Depth=2
	v_add_co_u32 v112, vcc_lo, v49, v2
	v_add_co_ci_u32_e64 v113, null, v50, v3, vcc_lo
	v_sub_nc_u32_e32 v13, v13, v55
	s_clause 0xf
	flat_load_ubyte v51, v[112:113] slc
	flat_load_ubyte v103, v[112:113] offset:32 slc
	flat_load_ubyte v114, v[112:113] offset:64 slc
	;; [unrolled: 1-line block ×15, first 2 shown]
	v_add_co_u32 v112, vcc_lo, v49, v37
	v_add_co_ci_u32_e64 v113, null, v50, v38, vcc_lo
	v_add_co_u32 v2, vcc_lo, v2, v96
	v_add_co_ci_u32_e64 v3, null, v3, v97, vcc_lo
	;; [unrolled: 2-line block ×3, first 2 shown]
	v_cmp_gt_i32_e32 vcc_lo, 1, v13
	s_waitcnt vmcnt(15) lgkmcnt(15)
	flat_store_byte v[112:113], v51 glc slc
	s_waitcnt vmcnt(14) lgkmcnt(15)
	flat_store_byte v[112:113], v103 offset:32 glc slc
	s_waitcnt vmcnt(13) lgkmcnt(15)
	flat_store_byte v[112:113], v114 offset:64 glc slc
	;; [unrolled: 2-line block ×15, first 2 shown]
	s_or_b32 s21, vcc_lo, s21
	s_andn2_b32 exec_lo, exec_lo, s21
	s_cbranch_execnz .LBB8_261
; %bb.262:                              ;   in Loop: Header=BB8_77 Depth=1
	s_or_b32 exec_lo, exec_lo, s21
.LBB8_263:                              ;   in Loop: Header=BB8_77 Depth=1
	s_or_b32 exec_lo, exec_lo, s19
	v_lshlrev_b32_e32 v2, 9, v48
	v_cmp_ne_u32_e32 vcc_lo, v11, v2
	s_and_b32 exec_lo, exec_lo, vcc_lo
	s_cbranch_execz .LBB8_267
; %bb.264:                              ;   in Loop: Header=BB8_77 Depth=1
	v_ashrrev_i32_e32 v3, 31, v12
	v_lshrrev_b32_e32 v3, 27, v3
	v_add_nc_u32_e32 v3, v12, v3
	v_and_b32_e32 v3, 0xffffffe0, v3
	v_sub_nc_u32_e32 v3, v12, v3
	v_lshlrev_b32_e32 v12, 5, v13
	v_sub_nc_u32_e32 v3, v3, v12
	v_add_nc_u32_e32 v12, v2, v3
	v_sub_nc_u32_e32 v11, v11, v12
	v_cmp_lt_i32_e32 vcc_lo, 0, v11
	s_and_b32 exec_lo, exec_lo, vcc_lo
	s_cbranch_execz .LBB8_267
; %bb.265:                              ;   in Loop: Header=BB8_77 Depth=1
	s_trap 2
	ds_read_b64 v[2:3], v0
	v_add_nc_u32_e32 v10, v12, v10
	s_mov_b32 s21, 0
	v_ashrrev_i32_e32 v12, 31, v10
	.p2align	6
.LBB8_266:                              ;   Parent Loop BB8_77 Depth=1
                                        ; =>  This Inner Loop Header: Depth=2
	s_waitcnt lgkmcnt(0)
	v_add_co_u32 v37, vcc_lo, v2, v10
	v_add_co_ci_u32_e64 v38, null, v3, v12, vcc_lo
	v_sub_nc_u32_e32 v11, v11, v64
	v_add_co_u32 v10, s19, v10, v85
	flat_load_ubyte v13, v[37:38] slc
	v_add_co_ci_u32_e64 v12, null, v12, v86, s19
	v_cmp_gt_i32_e32 vcc_lo, 1, v11
	s_or_b32 s21, vcc_lo, s21
	s_waitcnt vmcnt(0) lgkmcnt(0)
	flat_store_byte v[37:38], v13 glc slc
	s_andn2_b32 exec_lo, exec_lo, s21
	s_cbranch_execnz .LBB8_266
.LBB8_267:                              ;   in Loop: Header=BB8_77 Depth=1
	s_or_b32 exec_lo, exec_lo, s20
.LBB8_268:                              ;   in Loop: Header=BB8_77 Depth=1
	v_cmp_lt_i32_e64 s19, 0, v102
	s_and_saveexec_b32 s20, s7
	s_cbranch_execnz .LBB8_274
.LBB8_269:                              ;   in Loop: Header=BB8_77 Depth=1
	s_or_b32 exec_lo, exec_lo, s20
                                        ; implicit-def: $vgpr2
	s_and_saveexec_b32 s20, s15
	s_xor_b32 s20, exec_lo, s20
	s_cbranch_execz .LBB8_380
.LBB8_270:                              ;   in Loop: Header=BB8_77 Depth=1
	v_and_b32_e32 v2, 16, v52
	v_cmp_ne_u32_e32 vcc_lo, 0, v2
	v_and_b32_e32 v2, 16, v52
	s_and_b32 s21, vcc_lo, s19
	s_and_saveexec_b32 s19, s21
	s_cbranch_execz .LBB8_272
; %bb.271:                              ;   in Loop: Header=BB8_77 Depth=1
	v_mov_b32_e32 v2, 1
	s_waitcnt vmcnt(0) lgkmcnt(0)
	s_waitcnt_vscnt null, 0x0
	buffer_gl1_inv
	buffer_gl0_inv
.LBB8_272:                              ;   in Loop: Header=BB8_77 Depth=1
	s_or_b32 exec_lo, exec_lo, s19
	s_andn2_saveexec_b32 s19, s20
	s_cbranch_execz .LBB8_418
	s_branch .LBB8_381
.LBB8_273:                              ;   in Loop: Header=BB8_77 Depth=1
	s_mov_b32 s19, 0
	s_and_saveexec_b32 s20, s7
	s_cbranch_execz .LBB8_269
.LBB8_274:                              ;   in Loop: Header=BB8_77 Depth=1
	s_and_saveexec_b32 s21, s27
	s_xor_b32 s21, exec_lo, s21
	s_cbranch_execz .LBB8_377
; %bb.275:                              ;   in Loop: Header=BB8_77 Depth=1
	s_and_saveexec_b32 s22, s12
	s_cbranch_execz .LBB8_376
; %bb.276:                              ;   in Loop: Header=BB8_77 Depth=1
	s_mov_b32 s46, exec_lo
	s_mov_b32 s23, exec_lo
	v_mbcnt_lo_u32_b32 v2, s46, 0
	s_waitcnt vmcnt(0) lgkmcnt(0)
	s_waitcnt_vscnt null, 0x0
	buffer_gl1_inv
	buffer_gl0_inv
	v_cmpx_eq_u32_e32 0, v2
	s_cbranch_execz .LBB8_278
; %bb.277:                              ;   in Loop: Header=BB8_77 Depth=1
	s_bcnt1_i32_b32 s46, s46
	v_mov_b32_e32 v3, v1
	v_mov_b32_e32 v2, s46
	ds_add_u64 v0, v[2:3]
	s_trap 2
.LBB8_278:                              ;   in Loop: Header=BB8_77 Depth=1
	s_or_b32 exec_lo, exec_lo, s23
	s_trap 2
	ds_read_b64 v[2:3], v0
	s_waitcnt lgkmcnt(0)
	buffer_gl0_inv
	v_add_co_u32 v24, vcc_lo, v24, v55
	v_add_co_ci_u32_e64 v25, null, 0, v25, vcc_lo
	s_mov_b32 s23, exec_lo
	v_cmpx_lt_u64_e64 v[2:3], v[24:25]
	s_cbranch_execz .LBB8_375
; %bb.279:                              ;   in Loop: Header=BB8_77 Depth=1
	s_mov_b32 s46, 0
	s_mov_b32 s57, 0
                                        ; implicit-def: $sgpr47
                                        ; implicit-def: $sgpr56
	s_inst_prefetch 0x1
	s_branch .LBB8_281
	.p2align	6
.LBB8_280:                              ;   in Loop: Header=BB8_281 Depth=2
	s_or_b32 exec_lo, exec_lo, s59
	s_and_b32 s58, exec_lo, s60
	s_or_b32 s46, s58, s46
	s_andn2_b32 s47, s47, exec_lo
	s_and_b32 s58, s56, exec_lo
	s_or_b32 s47, s47, s58
	s_andn2_b32 exec_lo, exec_lo, s46
	s_cbranch_execz .LBB8_373
.LBB8_281:                              ;   Parent Loop BB8_77 Depth=1
                                        ; =>  This Inner Loop Header: Depth=2
	s_add_i32 s57, s57, 1
	s_cmpk_lg_i32 s57, 0x2710
	s_cselect_b32 s58, -1, 0
	s_and_b32 vcc_lo, exec_lo, s58
	s_cbranch_vccz .LBB8_283
; %bb.282:                              ;   in Loop: Header=BB8_281 Depth=2
	s_mov_b32 s60, -1
	s_or_b32 s56, s56, exec_lo
	s_and_saveexec_b32 s59, s58
	s_cbranch_execz .LBB8_280
	s_branch .LBB8_284
	.p2align	6
.LBB8_283:                              ;   in Loop: Header=BB8_281 Depth=2
	s_trap 2
	ds_read_b64 v[2:3], v0
	s_andn2_b32 s58, s58, exec_lo
	s_mov_b32 s57, 0
	s_waitcnt lgkmcnt(0)
	flat_load_dword v2, v[2:3] glc dlc
	s_waitcnt vmcnt(0) lgkmcnt(0)
	buffer_gl1_inv
	buffer_gl0_inv
	v_cmp_eq_u32_e32 vcc_lo, 0, v2
	s_and_b32 s59, vcc_lo, exec_lo
	s_or_b32 s58, s58, s59
	s_mov_b32 s60, -1
	s_or_b32 s56, s56, exec_lo
	s_and_saveexec_b32 s59, s58
	s_cbranch_execz .LBB8_280
.LBB8_284:                              ;   in Loop: Header=BB8_281 Depth=2
	s_sleep 1
	s_trap 2
	ds_read_b64 v[2:3], v0
	s_waitcnt lgkmcnt(0)
	buffer_gl0_inv
	s_andn2_b32 s56, s56, exec_lo
	v_cmp_ge_u64_e32 vcc_lo, v[2:3], v[24:25]
	s_orn2_b32 s60, vcc_lo, exec_lo
	s_branch .LBB8_280
.LBB8_285:                              ;   in Loop: Header=BB8_77 Depth=1
	s_inst_prefetch 0x2
	s_or_b32 exec_lo, exec_lo, s23
	s_and_saveexec_b32 s23, s47
	s_xor_b32 s23, exec_lo, s23
	s_cbranch_execz .LBB8_287
; %bb.286:                              ;   in Loop: Header=BB8_77 Depth=1
	ds_write_b32 v0, v66
	s_trap 2
.LBB8_287:                              ;   in Loop: Header=BB8_77 Depth=1
	s_or_b32 exec_lo, exec_lo, s22
	;;#ASMSTART
	s_wakeup
	;;#ASMEND
.LBB8_288:                              ;   in Loop: Header=BB8_77 Depth=1
	s_or_b32 exec_lo, exec_lo, s21
.LBB8_289:                              ;   in Loop: Header=BB8_77 Depth=1
	s_andn2_saveexec_b32 s20, s20
	s_cbranch_execz .LBB8_291
; %bb.290:                              ;   in Loop: Header=BB8_77 Depth=1
	s_waitcnt vmcnt(0) lgkmcnt(0)
	s_waitcnt_vscnt null, 0x0
	buffer_gl1_inv
	buffer_gl0_inv
	s_barrier
.LBB8_291:                              ;   in Loop: Header=BB8_77 Depth=1
	s_or_b32 exec_lo, exec_lo, s20
.LBB8_292:                              ;   in Loop: Header=BB8_77 Depth=1
	s_or_b32 exec_lo, exec_lo, s19
	s_trap 2
	ds_read_b64 v[2:3], v0
	s_waitcnt lgkmcnt(0)
	v_cmp_eq_u64_e32 vcc_lo, 0, v[2:3]
	s_cbranch_vccnz .LBB8_361
; %bb.293:                              ;   in Loop: Header=BB8_77 Depth=1
	s_trap 2
	ds_read_b64 v[37:38], v0
	s_waitcnt lgkmcnt(0)
	v_cmp_eq_u64_e32 vcc_lo, 0, v[37:38]
	s_cbranch_vccnz .LBB8_361
; %bb.294:                              ;   in Loop: Header=BB8_77 Depth=1
	s_trap 2
	ds_read_b64 v[48:49], v0
	v_cmp_eq_u32_e64 s19, 0, v10
	v_cndmask_b32_e64 v102, 0, v36, s19
	s_mov_b32 s19, -1
	s_waitcnt lgkmcnt(0)
	v_cmp_ne_u64_e32 vcc_lo, 0, v[48:49]
	s_cbranch_vccz .LBB8_327
; %bb.295:                              ;   in Loop: Header=BB8_77 Depth=1
	s_and_saveexec_b32 s20, s16
	s_cbranch_execz .LBB8_297
; %bb.296:                              ;   in Loop: Header=BB8_77 Depth=1
	ds_read_b32 v10, v0 offset:720
	s_waitcnt lgkmcnt(0)
	v_and_b32_e32 v10, 15, v10
	v_cmp_eq_u32_e32 vcc_lo, 0, v10
	s_orn2_b32 s19, vcc_lo, exec_lo
.LBB8_297:                              ;   in Loop: Header=BB8_77 Depth=1
	s_or_b32 exec_lo, exec_lo, s20
	s_and_saveexec_b32 s20, s14
	s_cbranch_execz .LBB8_299
; %bb.298:                              ;   in Loop: Header=BB8_77 Depth=1
	ds_read_b32 v10, v0 offset:784
	s_waitcnt lgkmcnt(0)
	v_and_b32_e32 v10, 15, v10
	v_cmp_eq_u32_e32 vcc_lo, 0, v10
	s_and_b32 s21, s19, vcc_lo
	s_andn2_b32 s19, s19, exec_lo
	s_and_b32 s21, s21, exec_lo
	s_or_b32 s19, s19, s21
.LBB8_299:                              ;   in Loop: Header=BB8_77 Depth=1
	s_or_b32 exec_lo, exec_lo, s20
	s_xor_b32 s19, s19, -1
	v_mov_b32_e32 v50, 0
	v_cndmask_b32_e64 v10, 0, 1, s19
	v_mov_b32_e32 v51, v102
	v_mov_b32_e32 v103, v0
	s_mov_b32 s19, -1
	v_cmp_ne_u32_e32 vcc_lo, 0, v10
	v_mov_b32_e32 v10, v81
	s_cbranch_vccnz .LBB8_315
; %bb.300:                              ;   in Loop: Header=BB8_77 Depth=1
	v_ashrrev_i32_e32 v10, 31, v102
	s_mov_b32 s20, exec_lo
	v_lshrrev_b32_e32 v10, 22, v10
	v_add_nc_u32_e32 v10, v102, v10
	v_ashrrev_i32_e32 v103, 10, v10
	v_sub_nc_u32_e32 v113, v103, v81
	v_cmpx_lt_i32_e32 0, v113
	s_cbranch_execz .LBB8_304
; %bb.301:                              ;   in Loop: Header=BB8_77 Depth=1
	v_add_co_u32 v10, vcc_lo, v2, v87
	v_add_co_ci_u32_e64 v11, null, v3, v99, vcc_lo
	v_add_co_u32 v12, vcc_lo, v37, v87
	v_add_co_ci_u32_e64 v13, null, v38, v99, vcc_lo
	;; [unrolled: 2-line block ×3, first 2 shown]
	s_mov_b32 s21, 0
	.p2align	6
.LBB8_302:                              ;   Parent Loop BB8_77 Depth=1
                                        ; =>  This Inner Loop Header: Depth=2
	s_clause 0x1
	global_load_dwordx4 v[114:117], v[10:11], off slc
	global_load_dwordx4 v[40:43], v[10:11], off offset:512 slc
	v_sub_nc_u32_e32 v113, v113, v55
	v_add_co_u32 v10, vcc_lo, v10, v69
	v_add_co_ci_u32_e64 v11, null, 0, v11, vcc_lo
	v_cmp_gt_i32_e32 vcc_lo, 1, v113
	s_waitcnt vmcnt(1)
	global_store_dwordx4 v[12:13], v[114:117], off glc slc
	s_waitcnt vmcnt(0)
	global_store_dwordx4 v[12:13], v[40:43], off offset:512 glc slc
	global_store_dwordx4 v[50:51], v[114:117], off glc slc
	global_store_dwordx4 v[50:51], v[40:43], off offset:512 glc slc
	v_add_co_u32 v12, s19, v12, v69
	v_add_co_ci_u32_e64 v13, null, 0, v13, s19
	v_add_co_u32 v50, s19, v50, v69
	v_add_co_ci_u32_e64 v51, null, 0, v51, s19
	s_or_b32 s21, vcc_lo, s21
	s_andn2_b32 exec_lo, exec_lo, s21
	s_cbranch_execnz .LBB8_302
; %bb.303:                              ;   in Loop: Header=BB8_77 Depth=1
	s_or_b32 exec_lo, exec_lo, s21
.LBB8_304:                              ;   in Loop: Header=BB8_77 Depth=1
	s_or_b32 exec_lo, exec_lo, s20
	v_lshlrev_b32_e32 v112, 10, v103
	v_mov_b32_e32 v50, 0
	s_mov_b32 s19, 0
	s_mov_b32 s47, exec_lo
                                        ; implicit-def: $vgpr51
                                        ; implicit-def: $vgpr103
                                        ; implicit-def: $vgpr10
	v_cmpx_ne_u32_e64 v102, v112
	s_cbranch_execz .LBB8_314
; %bb.305:                              ;   in Loop: Header=BB8_77 Depth=1
	v_lshlrev_b32_e32 v10, 5, v113
	v_sub_nc_u32_e32 v12, v102, v112
	s_mov_b32 s56, exec_lo
	v_sub_nc_u32_e32 v10, v84, v10
	v_ashrrev_i32_e32 v13, 31, v12
	v_ashrrev_i32_e32 v11, 31, v10
	v_lshrrev_b32_e32 v13, 23, v13
	v_lshrrev_b32_e32 v11, 27, v11
	v_add_nc_u32_e32 v13, v12, v13
	v_add_nc_u32_e32 v11, v10, v11
	v_and_b32_e32 v113, 0xfffffe00, v13
	v_ashrrev_i32_e32 v13, 9, v13
	v_and_b32_e32 v50, 0xffffffe0, v11
	v_sub_nc_u32_e32 v115, v12, v113
	v_ashrrev_i32_e32 v11, 5, v11
	v_sub_nc_u32_e32 v114, v10, v50
	v_cmp_lt_i32_e64 s19, 15, v115
	v_lshlrev_b32_e32 v10, 4, v114
	v_add_co_ci_u32_e64 v13, null, 0, v13, s19
	v_lshl_add_u32 v10, v11, 9, v10
	v_sub_nc_u32_e32 v116, v13, v11
	v_sub_nc_u32_e32 v103, v12, v10
	v_cmpx_lt_i32_e32 15, v103
	s_cbranch_execz .LBB8_311
; %bb.306:                              ;   in Loop: Header=BB8_77 Depth=1
	v_add_nc_u32_e32 v10, v10, v112
	s_mov_b32 s57, 0
	v_ashrrev_i32_e32 v11, 31, v10
	v_add_co_u32 v50, vcc_lo, v10, v2
	v_add_co_ci_u32_e64 v51, null, v11, v3, vcc_lo
	v_add_co_u32 v117, vcc_lo, v10, v37
	v_add_co_ci_u32_e64 v118, null, v11, v38, vcc_lo
	;; [unrolled: 2-line block ×3, first 2 shown]
	s_inst_prefetch 0x1
	.p2align	6
.LBB8_307:                              ;   Parent Loop BB8_77 Depth=1
                                        ; =>  This Loop Header: Depth=2
                                        ;       Child Loop BB8_308 Depth 3
	global_load_dwordx4 v[10:13], v[50:51], off slc
	s_mov_b64 s[22:23], 0
	s_mov_b32 s58, -1
	.p2align	6
.LBB8_308:                              ;   Parent Loop BB8_77 Depth=1
                                        ;     Parent Loop BB8_307 Depth=2
                                        ; =>    This Inner Loop Header: Depth=3
	s_cmp_eq_u32 s22, 1
	s_cselect_b32 vcc_lo, -1, 0
	s_cmp_eq_u32 s22, 0
	v_cndmask_b32_e32 v41, v117, v119, vcc_lo
	v_cndmask_b32_e32 v42, v118, v40, vcc_lo
	s_mov_b64 s[22:23], 1
	v_add_co_u32 v43, s20, 0x200, v41
	v_add_co_ci_u32_e64 v44, null, 0, v42, s20
	s_cselect_b32 s20, -1, 0
	v_cndmask_b32_e32 v119, v119, v43, vcc_lo
	v_cndmask_b32_e64 v117, v117, v43, s20
	v_cndmask_b32_e32 v40, v40, v44, vcc_lo
	v_cndmask_b32_e64 v118, v118, v44, s20
	s_and_b32 s21, exec_lo, s58
	s_mov_b32 s58, 0
	s_mov_b32 vcc_lo, s21
	s_waitcnt vmcnt(0)
	global_store_dwordx4 v[41:42], v[10:13], off glc slc
	s_cbranch_vccnz .LBB8_308
; %bb.309:                              ;   in Loop: Header=BB8_307 Depth=2
	v_sub_nc_u32_e32 v103, v103, v68
	v_add_co_u32 v117, vcc_lo, v117, v80
	v_add_co_ci_u32_e64 v118, null, v118, v83, vcc_lo
	v_add_co_u32 v119, vcc_lo, v119, v80
	v_add_co_ci_u32_e64 v40, null, v40, v83, vcc_lo
	v_cmp_gt_i32_e32 vcc_lo, 16, v103
	v_add_co_u32 v50, s20, v96, v50
	v_add_co_ci_u32_e64 v51, null, v97, v51, s20
	v_sub_nc_u32_e32 v116, v116, v55
	s_or_b32 s57, vcc_lo, s57
	s_andn2_b32 exec_lo, exec_lo, s57
	s_cbranch_execnz .LBB8_307
; %bb.310:                              ;   in Loop: Header=BB8_77 Depth=1
	s_inst_prefetch 0x2
	s_or_b32 exec_lo, exec_lo, s57
.LBB8_311:                              ;   in Loop: Header=BB8_77 Depth=1
	s_or_b32 exec_lo, exec_lo, s56
	v_and_b32_e32 v11, 15, v102
	v_mov_b32_e32 v50, 0
	s_mov_b32 s20, 0
	s_mov_b32 s21, exec_lo
                                        ; implicit-def: $vgpr103
                                        ; implicit-def: $vgpr10
	v_cndmask_b32_e64 v51, v115, v11, s19
	v_cmpx_ne_u32_e32 0, v51
	s_cbranch_execz .LBB8_313
; %bb.312:                              ;   in Loop: Header=BB8_77 Depth=1
	v_cmp_lt_i32_e32 vcc_lo, 0, v116
	v_sub_nc_u32_e32 v11, v115, v11
	s_mov_b32 s20, exec_lo
	v_cndmask_b32_e32 v10, 0, v55, vcc_lo
	v_cndmask_b32_e64 v11, 0, v11, s19
	v_sub_nc_u32_e32 v10, v10, v116
	v_add3_u32 v50, v113, v112, v11
	v_lshl_add_u32 v103, v10, 5, v114
	v_ashrrev_i32_e32 v10, 31, v103
	v_lshrrev_b32_e32 v10, 27, v10
	v_add_nc_u32_e32 v10, v103, v10
	v_ashrrev_i32_e32 v10, 5, v10
.LBB8_313:                              ;   in Loop: Header=BB8_77 Depth=1
	s_or_b32 exec_lo, exec_lo, s21
	s_and_b32 s19, s20, exec_lo
.LBB8_314:                              ;   in Loop: Header=BB8_77 Depth=1
	s_or_b32 exec_lo, exec_lo, s47
.LBB8_315:                              ;   in Loop: Header=BB8_77 Depth=1
	s_and_saveexec_b32 s21, s19
	s_cbranch_execz .LBB8_326
; %bb.316:                              ;   in Loop: Header=BB8_77 Depth=1
	v_ashrrev_i32_e32 v11, 31, v51
	v_ashrrev_i32_e32 v113, 31, v103
	s_mov_b32 s20, exec_lo
	v_lshrrev_b32_e32 v11, 23, v11
	v_add_nc_u32_e32 v11, v51, v11
	v_ashrrev_i32_e32 v114, 9, v11
	v_sub_nc_u32_e32 v112, v114, v10
	v_cmpx_lt_i32_e32 0, v112
	s_cbranch_execz .LBB8_320
; %bb.317:                              ;   in Loop: Header=BB8_77 Depth=1
	v_lshrrev_b32_e32 v11, 27, v113
	v_lshlrev_b32_e32 v10, 9, v10
	v_add_co_u32 v117, vcc_lo, 0x1e0, v2
	v_add_co_ci_u32_e64 v118, null, 0, v3, vcc_lo
	v_add_nc_u32_e32 v11, v103, v11
	s_mov_b32 s22, 0
	v_and_b32_e32 v11, 0xffffffe0, v11
	v_sub_nc_u32_e32 v11, v103, v11
	v_add3_u32 v115, v50, v11, v10
	v_ashrrev_i32_e32 v116, 31, v115
	v_add_co_u32 v10, vcc_lo, v115, v37
	v_add_co_ci_u32_e64 v11, null, v116, v38, vcc_lo
	v_add_co_u32 v12, vcc_lo, v115, v48
	v_add_co_ci_u32_e64 v13, null, v116, v49, vcc_lo
	;; [unrolled: 2-line block ×3, first 2 shown]
.LBB8_318:                              ;   Parent Loop BB8_77 Depth=1
                                        ; =>  This Inner Loop Header: Depth=2
	v_add_co_u32 v115, vcc_lo, 0xfffffe20, v48
	v_add_co_ci_u32_e64 v116, null, -1, v49, vcc_lo
	v_add_co_u32 v117, vcc_lo, 0xfffffe40, v48
	v_add_co_ci_u32_e64 v118, null, -1, v49, vcc_lo
	;; [unrolled: 2-line block ×15, first 2 shown]
	flat_load_ubyte v119, v[48:49] slc
	flat_load_ubyte v115, v[115:116] slc
	;; [unrolled: 1-line block ×16, first 2 shown]
	v_sub_nc_u32_e32 v112, v112, v55
	v_add_co_u32 v48, vcc_lo, v48, v96
	v_add_co_ci_u32_e64 v49, null, v49, v97, vcc_lo
	v_cmp_gt_i32_e32 vcc_lo, 1, v112
	s_waitcnt vmcnt(15) lgkmcnt(15)
	flat_store_byte v[10:11], v119 offset:480 glc slc
	s_waitcnt vmcnt(14) lgkmcnt(15)
	flat_store_byte v[10:11], v115 glc slc
	s_waitcnt vmcnt(13) lgkmcnt(15)
	flat_store_byte v[10:11], v116 offset:32 glc slc
	s_waitcnt vmcnt(12) lgkmcnt(15)
	flat_store_byte v[10:11], v117 offset:64 glc slc
	;; [unrolled: 2-line block ×14, first 2 shown]
	flat_store_byte v[12:13], v115 glc slc
	flat_store_byte v[12:13], v116 offset:32 glc slc
	flat_store_byte v[12:13], v117 offset:64 glc slc
	;; [unrolled: 1-line block ×15, first 2 shown]
	v_add_co_u32 v10, s19, v10, v68
	v_add_co_ci_u32_e64 v11, null, 0, v11, s19
	v_add_co_u32 v12, s19, v12, v68
	v_add_co_ci_u32_e64 v13, null, 0, v13, s19
	s_or_b32 s22, vcc_lo, s22
	s_andn2_b32 exec_lo, exec_lo, s22
	s_cbranch_execnz .LBB8_318
; %bb.319:                              ;   in Loop: Header=BB8_77 Depth=1
	s_or_b32 exec_lo, exec_lo, s22
.LBB8_320:                              ;   in Loop: Header=BB8_77 Depth=1
	s_or_b32 exec_lo, exec_lo, s20
	v_lshlrev_b32_e32 v10, 9, v114
	v_cmp_ne_u32_e32 vcc_lo, v51, v10
	s_and_b32 exec_lo, exec_lo, vcc_lo
	s_cbranch_execz .LBB8_326
; %bb.321:                              ;   in Loop: Header=BB8_77 Depth=1
	v_lshrrev_b32_e32 v11, 27, v113
	v_lshlrev_b32_e32 v12, 5, v112
	v_add_nc_u32_e32 v11, v103, v11
	v_and_b32_e32 v11, 0xffffffe0, v11
	v_sub_nc_u32_e32 v11, v103, v11
	v_sub_nc_u32_e32 v11, v11, v12
	v_add_nc_u32_e32 v10, v10, v11
	v_sub_nc_u32_e32 v12, v51, v10
	v_cmp_lt_i32_e32 vcc_lo, 0, v12
	s_and_b32 exec_lo, exec_lo, vcc_lo
	s_cbranch_execz .LBB8_326
; %bb.322:                              ;   in Loop: Header=BB8_77 Depth=1
	s_trap 2
	ds_read_b64 v[48:49], v0
	ds_read_b128 v[112:115], v0
	v_add_nc_u32_e32 v50, v10, v50
	s_mov_b32 s47, 0
	v_ashrrev_i32_e32 v51, 31, v50
	s_waitcnt lgkmcnt(1)
	v_add_co_u32 v10, vcc_lo, v48, v50
	v_add_co_ci_u32_e64 v11, null, v49, v51, vcc_lo
	s_waitcnt lgkmcnt(0)
	v_add_co_u32 v13, vcc_lo, v112, v50
	v_add_co_ci_u32_e64 v48, null, v113, v51, vcc_lo
	v_add_co_u32 v49, vcc_lo, v114, v50
	v_add_co_ci_u32_e64 v50, null, v115, v51, vcc_lo
	s_inst_prefetch 0x1
	.p2align	6
.LBB8_323:                              ;   Parent Loop BB8_77 Depth=1
                                        ; =>  This Loop Header: Depth=2
                                        ;       Child Loop BB8_324 Depth 3
	flat_load_ubyte v51, v[10:11] slc
	s_mov_b64 s[22:23], 0
	s_mov_b32 s56, -1
	.p2align	6
.LBB8_324:                              ;   Parent Loop BB8_77 Depth=1
                                        ;     Parent Loop BB8_323 Depth=2
                                        ; =>    This Inner Loop Header: Depth=3
	s_cmp_eq_u32 s22, 1
	s_cselect_b32 vcc_lo, -1, 0
	s_cmp_eq_u32 s22, 0
	v_cndmask_b32_e32 v112, v13, v49, vcc_lo
	v_cndmask_b32_e32 v113, v48, v50, vcc_lo
	s_mov_b64 s[22:23], 1
	v_add_co_u32 v103, s19, v112, 32
	v_add_co_ci_u32_e64 v114, null, 0, v113, s19
	s_cselect_b32 s19, -1, 0
	v_cndmask_b32_e32 v49, v49, v103, vcc_lo
	v_cndmask_b32_e64 v13, v13, v103, s19
	v_cndmask_b32_e32 v50, v50, v114, vcc_lo
	v_cndmask_b32_e64 v48, v48, v114, s19
	s_and_b32 s20, exec_lo, s56
	s_mov_b32 s56, 0
	s_mov_b32 vcc_lo, s20
	s_waitcnt vmcnt(0) lgkmcnt(0)
	flat_store_byte v[112:113], v51 glc slc
	s_cbranch_vccnz .LBB8_324
; %bb.325:                              ;   in Loop: Header=BB8_323 Depth=2
	v_sub_nc_u32_e32 v12, v12, v64
	v_add_co_u32 v13, vcc_lo, v13, v70
	v_add_co_ci_u32_e64 v48, null, v48, v82, vcc_lo
	v_add_co_u32 v49, vcc_lo, v49, v70
	v_add_co_ci_u32_e64 v50, null, v50, v82, vcc_lo
	v_cmp_gt_i32_e32 vcc_lo, 1, v12
	v_add_co_u32 v10, s19, v85, v10
	v_add_co_ci_u32_e64 v11, null, v86, v11, s19
	s_or_b32 s47, vcc_lo, s47
	s_andn2_b32 exec_lo, exec_lo, s47
	s_cbranch_execnz .LBB8_323
.LBB8_326:                              ;   in Loop: Header=BB8_77 Depth=1
	s_inst_prefetch 0x2
	s_or_b32 exec_lo, exec_lo, s21
	s_mov_b32 s19, 0
.LBB8_327:                              ;   in Loop: Header=BB8_77 Depth=1
	s_and_b32 vcc_lo, exec_lo, s19
	s_cbranch_vccz .LBB8_356
; %bb.328:                              ;   in Loop: Header=BB8_77 Depth=1
	s_mov_b32 s19, -1
	s_and_saveexec_b32 s20, s16
	s_cbranch_execz .LBB8_330
; %bb.329:                              ;   in Loop: Header=BB8_77 Depth=1
	ds_read_b32 v10, v0 offset:720
	s_waitcnt lgkmcnt(0)
	v_and_b32_e32 v10, 15, v10
	v_cmp_eq_u32_e32 vcc_lo, 0, v10
	s_orn2_b32 s19, vcc_lo, exec_lo
.LBB8_330:                              ;   in Loop: Header=BB8_77 Depth=1
	s_or_b32 exec_lo, exec_lo, s20
	s_and_saveexec_b32 s20, s16
	s_cbranch_execz .LBB8_332
; %bb.331:                              ;   in Loop: Header=BB8_77 Depth=1
	ds_read_b32 v10, v0 offset:784
	s_waitcnt lgkmcnt(0)
	v_and_b32_e32 v10, 15, v10
	v_cmp_eq_u32_e32 vcc_lo, 0, v10
	s_and_b32 s21, s19, vcc_lo
	s_andn2_b32 s19, s19, exec_lo
	s_and_b32 s21, s21, exec_lo
	s_or_b32 s19, s19, s21
.LBB8_332:                              ;   in Loop: Header=BB8_77 Depth=1
	s_or_b32 exec_lo, exec_lo, s20
	s_xor_b32 s19, s19, -1
	v_mov_b32_e32 v10, 0
	v_cndmask_b32_e64 v11, 0, 1, s19
	v_mov_b32_e32 v12, v0
	v_mov_b32_e32 v103, v81
	s_mov_b32 s19, -1
	v_cmp_ne_u32_e32 vcc_lo, 0, v11
	v_mov_b32_e32 v11, v102
	s_cbranch_vccnz .LBB8_346
; %bb.333:                              ;   in Loop: Header=BB8_77 Depth=1
	v_ashrrev_i32_e32 v10, 31, v102
	s_mov_b32 s20, exec_lo
	v_lshrrev_b32_e32 v10, 21, v10
	v_add_nc_u32_e32 v10, v102, v10
	v_ashrrev_i32_e32 v49, 11, v10
	v_sub_nc_u32_e32 v48, v49, v81
	v_cmpx_lt_i32_e32 0, v48
	s_cbranch_execz .LBB8_337
; %bb.334:                              ;   in Loop: Header=BB8_77 Depth=1
	v_mov_b32_e32 v10, v37
	v_mov_b32_e32 v13, v3
	;; [unrolled: 1-line block ×4, first 2 shown]
	s_mov_b32 s21, 0
	s_inst_prefetch 0x1
	.p2align	6
.LBB8_335:                              ;   Parent Loop BB8_77 Depth=1
                                        ; =>  This Inner Loop Header: Depth=2
	v_add_co_u32 v50, vcc_lo, v98, v12
	v_add_co_ci_u32_e64 v51, null, v100, v13, vcc_lo
	v_sub_nc_u32_e32 v48, v48, v55
	s_clause 0x3
	global_load_dwordx4 v[112:115], v[50:51], off slc
	global_load_dwordx4 v[116:119], v[50:51], off offset:512 slc
	global_load_dwordx4 v[40:43], v[50:51], off offset:1024 slc
	global_load_dwordx4 v[44:47], v[50:51], off offset:1536 slc
	v_add_co_u32 v50, vcc_lo, v98, v10
	v_add_co_ci_u32_e64 v51, null, v100, v11, vcc_lo
	v_add_co_u32 v12, vcc_lo, v12, v71
	v_add_co_ci_u32_e64 v13, null, 0, v13, vcc_lo
	v_add_co_u32 v10, vcc_lo, v10, v71
	v_cmp_gt_i32_e64 s19, 1, v48
	v_add_co_ci_u32_e64 v11, null, 0, v11, vcc_lo
	s_waitcnt vmcnt(3)
	global_store_dwordx4 v[50:51], v[112:115], off glc slc
	s_waitcnt vmcnt(2)
	global_store_dwordx4 v[50:51], v[116:119], off offset:512 glc slc
	s_waitcnt vmcnt(1)
	global_store_dwordx4 v[50:51], v[40:43], off offset:1024 glc slc
	;; [unrolled: 2-line block ×3, first 2 shown]
	s_or_b32 s21, s19, s21
	s_andn2_b32 exec_lo, exec_lo, s21
	s_cbranch_execnz .LBB8_335
; %bb.336:                              ;   in Loop: Header=BB8_77 Depth=1
	s_inst_prefetch 0x2
	s_or_b32 exec_lo, exec_lo, s21
.LBB8_337:                              ;   in Loop: Header=BB8_77 Depth=1
	s_or_b32 exec_lo, exec_lo, s20
	v_lshlrev_b32_e32 v13, 11, v49
	v_mov_b32_e32 v10, 0
	s_mov_b32 s19, 0
	s_mov_b32 s21, exec_lo
                                        ; implicit-def: $vgpr11
                                        ; implicit-def: $vgpr12
                                        ; implicit-def: $vgpr103
	v_cmpx_ne_u32_e64 v102, v13
	s_cbranch_execz .LBB8_345
; %bb.338:                              ;   in Loop: Header=BB8_77 Depth=1
	v_lshlrev_b32_e32 v10, 5, v48
	v_sub_nc_u32_e32 v12, v102, v13
	s_mov_b32 s22, exec_lo
	v_sub_nc_u32_e32 v10, v84, v10
	v_ashrrev_i32_e32 v48, 31, v12
	v_ashrrev_i32_e32 v11, 31, v10
	v_lshrrev_b32_e32 v48, 23, v48
	v_lshrrev_b32_e32 v11, 27, v11
	v_add_nc_u32_e32 v51, v12, v48
	v_add_nc_u32_e32 v11, v10, v11
	v_and_b32_e32 v48, 0xfffffe00, v51
	v_ashrrev_i32_e32 v51, 9, v51
	v_and_b32_e32 v49, 0xffffffe0, v11
	v_sub_nc_u32_e32 v50, v12, v48
	v_ashrrev_i32_e32 v103, 5, v11
	v_sub_nc_u32_e32 v49, v10, v49
	v_cmp_lt_i32_e32 vcc_lo, 15, v50
	v_lshlrev_b32_e32 v10, 4, v49
	v_add_co_ci_u32_e64 v51, null, 0, v51, vcc_lo
	v_lshl_add_u32 v11, v103, 9, v10
	v_sub_nc_u32_e32 v51, v51, v103
	v_sub_nc_u32_e32 v10, v12, v11
	v_cmpx_lt_i32_e32 15, v10
	s_cbranch_execz .LBB8_342
; %bb.339:                              ;   in Loop: Header=BB8_77 Depth=1
	v_add_nc_u32_e32 v11, v11, v13
	s_mov_b32 s23, 0
	v_ashrrev_i32_e32 v12, 31, v11
	.p2align	6
.LBB8_340:                              ;   Parent Loop BB8_77 Depth=1
                                        ; =>  This Inner Loop Header: Depth=2
	v_add_co_u32 v112, s19, v2, v11
	v_add_co_ci_u32_e64 v113, null, v3, v12, s19
	v_sub_nc_u32_e32 v10, v10, v68
	v_add_co_u32 v116, s19, v37, v11
	global_load_dwordx4 v[112:115], v[112:113], off slc
	v_add_co_ci_u32_e64 v117, null, v38, v12, s19
	v_cmp_gt_i32_e64 s19, 16, v10
	v_add_co_u32 v11, s20, v11, v96
	v_sub_nc_u32_e32 v51, v51, v55
	v_add_co_ci_u32_e64 v12, null, v12, v97, s20
	s_or_b32 s23, s19, s23
	s_waitcnt vmcnt(0)
	global_store_dwordx4 v[116:117], v[112:115], off glc slc
	s_andn2_b32 exec_lo, exec_lo, s23
	s_cbranch_execnz .LBB8_340
; %bb.341:                              ;   in Loop: Header=BB8_77 Depth=1
	s_or_b32 exec_lo, exec_lo, s23
.LBB8_342:                              ;   in Loop: Header=BB8_77 Depth=1
	s_or_b32 exec_lo, exec_lo, s22
	v_and_b32_e32 v112, 15, v102
	v_mov_b32_e32 v10, 0
	s_mov_b32 s20, 0
	s_mov_b32 s22, exec_lo
                                        ; implicit-def: $vgpr12
                                        ; implicit-def: $vgpr103
	v_cndmask_b32_e32 v11, v50, v112, vcc_lo
	v_cmpx_ne_u32_e32 0, v11
	s_cbranch_execz .LBB8_344
; %bb.343:                              ;   in Loop: Header=BB8_77 Depth=1
	v_cmp_lt_i32_e64 s19, 0, v51
	s_mov_b32 s20, exec_lo
	v_cndmask_b32_e64 v10, 0, v55, s19
	v_sub_nc_u32_e32 v10, v10, v51
	v_lshl_add_u32 v12, v10, 5, v49
	v_sub_nc_u32_e32 v49, v50, v112
	v_ashrrev_i32_e32 v10, 31, v12
	v_cndmask_b32_e32 v49, 0, v49, vcc_lo
	v_lshrrev_b32_e32 v10, 27, v10
	v_add_nc_u32_e32 v50, v12, v10
	v_add3_u32 v10, v48, v13, v49
	v_ashrrev_i32_e32 v103, 5, v50
.LBB8_344:                              ;   in Loop: Header=BB8_77 Depth=1
	s_or_b32 exec_lo, exec_lo, s22
	s_and_b32 s19, s20, exec_lo
.LBB8_345:                              ;   in Loop: Header=BB8_77 Depth=1
	s_or_b32 exec_lo, exec_lo, s21
.LBB8_346:                              ;   in Loop: Header=BB8_77 Depth=1
	s_and_saveexec_b32 s20, s19
	s_cbranch_execz .LBB8_355
; %bb.347:                              ;   in Loop: Header=BB8_77 Depth=1
	v_ashrrev_i32_e32 v13, 31, v11
	s_mov_b32 s19, exec_lo
	v_lshrrev_b32_e32 v13, 23, v13
	v_add_nc_u32_e32 v13, v11, v13
	v_ashrrev_i32_e32 v48, 9, v13
	v_sub_nc_u32_e32 v13, v48, v103
	v_cmpx_lt_i32_e32 0, v13
	s_cbranch_execz .LBB8_351
; %bb.348:                              ;   in Loop: Header=BB8_77 Depth=1
	v_ashrrev_i32_e32 v49, 31, v12
	v_lshlrev_b32_e32 v50, 9, v103
	s_mov_b32 s21, 0
	v_lshrrev_b32_e32 v49, 27, v49
	v_add_nc_u32_e32 v49, v12, v49
	v_and_b32_e32 v49, 0xffffffe0, v49
	v_sub_nc_u32_e32 v49, v12, v49
	v_add3_u32 v49, v10, v49, v50
	v_ashrrev_i32_e32 v50, 31, v49
.LBB8_349:                              ;   Parent Loop BB8_77 Depth=1
                                        ; =>  This Inner Loop Header: Depth=2
	v_add_co_u32 v112, vcc_lo, v49, v2
	v_add_co_ci_u32_e64 v113, null, v50, v3, vcc_lo
	v_sub_nc_u32_e32 v13, v13, v55
	s_clause 0xf
	flat_load_ubyte v51, v[112:113] slc
	flat_load_ubyte v103, v[112:113] offset:32 slc
	flat_load_ubyte v114, v[112:113] offset:64 slc
	;; [unrolled: 1-line block ×15, first 2 shown]
	v_add_co_u32 v112, vcc_lo, v49, v37
	v_add_co_ci_u32_e64 v113, null, v50, v38, vcc_lo
	v_add_co_u32 v2, vcc_lo, v2, v96
	v_add_co_ci_u32_e64 v3, null, v3, v97, vcc_lo
	;; [unrolled: 2-line block ×3, first 2 shown]
	v_cmp_gt_i32_e32 vcc_lo, 1, v13
	s_waitcnt vmcnt(15) lgkmcnt(15)
	flat_store_byte v[112:113], v51 glc slc
	s_waitcnt vmcnt(14) lgkmcnt(15)
	flat_store_byte v[112:113], v103 offset:32 glc slc
	s_waitcnt vmcnt(13) lgkmcnt(15)
	flat_store_byte v[112:113], v114 offset:64 glc slc
	;; [unrolled: 2-line block ×15, first 2 shown]
	s_or_b32 s21, vcc_lo, s21
	s_andn2_b32 exec_lo, exec_lo, s21
	s_cbranch_execnz .LBB8_349
; %bb.350:                              ;   in Loop: Header=BB8_77 Depth=1
	s_or_b32 exec_lo, exec_lo, s21
.LBB8_351:                              ;   in Loop: Header=BB8_77 Depth=1
	s_or_b32 exec_lo, exec_lo, s19
	v_lshlrev_b32_e32 v2, 9, v48
	v_cmp_ne_u32_e32 vcc_lo, v11, v2
	s_and_b32 exec_lo, exec_lo, vcc_lo
	s_cbranch_execz .LBB8_355
; %bb.352:                              ;   in Loop: Header=BB8_77 Depth=1
	v_ashrrev_i32_e32 v3, 31, v12
	v_lshrrev_b32_e32 v3, 27, v3
	v_add_nc_u32_e32 v3, v12, v3
	v_and_b32_e32 v3, 0xffffffe0, v3
	v_sub_nc_u32_e32 v3, v12, v3
	v_lshlrev_b32_e32 v12, 5, v13
	v_sub_nc_u32_e32 v3, v3, v12
	v_add_nc_u32_e32 v12, v2, v3
	v_sub_nc_u32_e32 v11, v11, v12
	v_cmp_lt_i32_e32 vcc_lo, 0, v11
	s_and_b32 exec_lo, exec_lo, vcc_lo
	s_cbranch_execz .LBB8_355
; %bb.353:                              ;   in Loop: Header=BB8_77 Depth=1
	s_trap 2
	ds_read_b64 v[2:3], v0
	v_add_nc_u32_e32 v10, v12, v10
	s_mov_b32 s21, 0
	v_ashrrev_i32_e32 v12, 31, v10
	.p2align	6
.LBB8_354:                              ;   Parent Loop BB8_77 Depth=1
                                        ; =>  This Inner Loop Header: Depth=2
	s_waitcnt lgkmcnt(0)
	v_add_co_u32 v37, vcc_lo, v2, v10
	v_add_co_ci_u32_e64 v38, null, v3, v12, vcc_lo
	v_sub_nc_u32_e32 v11, v11, v64
	v_add_co_u32 v10, s19, v10, v85
	flat_load_ubyte v13, v[37:38] slc
	v_add_co_ci_u32_e64 v12, null, v12, v86, s19
	v_cmp_gt_i32_e32 vcc_lo, 1, v11
	s_or_b32 s21, vcc_lo, s21
	s_waitcnt vmcnt(0) lgkmcnt(0)
	flat_store_byte v[37:38], v13 glc slc
	s_andn2_b32 exec_lo, exec_lo, s21
	s_cbranch_execnz .LBB8_354
.LBB8_355:                              ;   in Loop: Header=BB8_77 Depth=1
	s_or_b32 exec_lo, exec_lo, s20
.LBB8_356:                              ;   in Loop: Header=BB8_77 Depth=1
	v_cmp_lt_i32_e64 s19, 0, v102
	s_and_saveexec_b32 s20, s7
	s_cbranch_execnz .LBB8_362
.LBB8_357:                              ;   in Loop: Header=BB8_77 Depth=1
	s_or_b32 exec_lo, exec_lo, s20
                                        ; implicit-def: $vgpr2
	s_and_saveexec_b32 s20, s15
	s_xor_b32 s20, exec_lo, s20
	s_cbranch_execz .LBB8_399
.LBB8_358:                              ;   in Loop: Header=BB8_77 Depth=1
	v_and_b32_e32 v2, 16, v52
	v_cmp_ne_u32_e32 vcc_lo, 0, v2
	v_and_b32_e32 v2, 16, v52
	s_and_b32 s21, vcc_lo, s19
	s_and_saveexec_b32 s19, s21
	s_cbranch_execz .LBB8_360
; %bb.359:                              ;   in Loop: Header=BB8_77 Depth=1
	v_mov_b32_e32 v2, 1
	s_waitcnt vmcnt(0) lgkmcnt(0)
	s_waitcnt_vscnt null, 0x0
	buffer_gl1_inv
	buffer_gl0_inv
.LBB8_360:                              ;   in Loop: Header=BB8_77 Depth=1
	s_or_b32 exec_lo, exec_lo, s19
	s_andn2_saveexec_b32 s19, s20
	s_cbranch_execz .LBB8_473
	s_branch .LBB8_400
.LBB8_361:                              ;   in Loop: Header=BB8_77 Depth=1
	s_mov_b32 s19, 0
	s_and_saveexec_b32 s20, s7
	s_cbranch_execz .LBB8_357
.LBB8_362:                              ;   in Loop: Header=BB8_77 Depth=1
	s_and_saveexec_b32 s21, s27
	s_xor_b32 s21, exec_lo, s21
	s_cbranch_execz .LBB8_396
; %bb.363:                              ;   in Loop: Header=BB8_77 Depth=1
	s_and_saveexec_b32 s22, s12
	s_cbranch_execz .LBB8_395
; %bb.364:                              ;   in Loop: Header=BB8_77 Depth=1
	s_mov_b32 s47, exec_lo
	s_mov_b32 s23, exec_lo
	v_mbcnt_lo_u32_b32 v2, s47, 0
	s_waitcnt vmcnt(0) lgkmcnt(0)
	s_waitcnt_vscnt null, 0x0
	buffer_gl1_inv
	buffer_gl0_inv
	v_cmpx_eq_u32_e32 0, v2
	s_cbranch_execz .LBB8_366
; %bb.365:                              ;   in Loop: Header=BB8_77 Depth=1
	s_bcnt1_i32_b32 s47, s47
	v_mov_b32_e32 v3, v1
	v_mov_b32_e32 v2, s47
	ds_add_u64 v0, v[2:3]
	s_trap 2
.LBB8_366:                              ;   in Loop: Header=BB8_77 Depth=1
	s_or_b32 exec_lo, exec_lo, s23
	s_trap 2
	ds_read_b64 v[2:3], v0
	s_waitcnt lgkmcnt(0)
	buffer_gl0_inv
	v_add_co_u32 v24, vcc_lo, v24, v55
	v_add_co_ci_u32_e64 v25, null, 0, v25, vcc_lo
	s_mov_b32 s23, exec_lo
	v_cmpx_lt_u64_e64 v[2:3], v[24:25]
	s_cbranch_execz .LBB8_394
; %bb.367:                              ;   in Loop: Header=BB8_77 Depth=1
	s_mov_b32 s47, 0
	s_mov_b32 s58, 0
                                        ; implicit-def: $sgpr56
                                        ; implicit-def: $sgpr57
	s_inst_prefetch 0x1
	s_branch .LBB8_369
	.p2align	6
.LBB8_368:                              ;   in Loop: Header=BB8_369 Depth=2
	s_or_b32 exec_lo, exec_lo, s60
	s_and_b32 s59, exec_lo, s61
	s_or_b32 s47, s59, s47
	s_andn2_b32 s56, s56, exec_lo
	s_and_b32 s59, s57, exec_lo
	s_or_b32 s56, s56, s59
	s_andn2_b32 exec_lo, exec_lo, s47
	s_cbranch_execz .LBB8_392
.LBB8_369:                              ;   Parent Loop BB8_77 Depth=1
                                        ; =>  This Inner Loop Header: Depth=2
	s_add_i32 s58, s58, 1
	s_cmpk_lg_i32 s58, 0x2710
	s_cselect_b32 s59, -1, 0
	s_and_b32 vcc_lo, exec_lo, s59
	s_cbranch_vccz .LBB8_371
; %bb.370:                              ;   in Loop: Header=BB8_369 Depth=2
	s_mov_b32 s61, -1
	s_or_b32 s57, s57, exec_lo
	s_and_saveexec_b32 s60, s59
	s_cbranch_execz .LBB8_368
	s_branch .LBB8_372
	.p2align	6
.LBB8_371:                              ;   in Loop: Header=BB8_369 Depth=2
	s_trap 2
	ds_read_b64 v[2:3], v0
	s_andn2_b32 s59, s59, exec_lo
	s_mov_b32 s58, 0
	s_waitcnt lgkmcnt(0)
	flat_load_dword v2, v[2:3] glc dlc
	s_waitcnt vmcnt(0) lgkmcnt(0)
	buffer_gl1_inv
	buffer_gl0_inv
	v_cmp_eq_u32_e32 vcc_lo, 0, v2
	s_and_b32 s60, vcc_lo, exec_lo
	s_or_b32 s59, s59, s60
	s_mov_b32 s61, -1
	s_or_b32 s57, s57, exec_lo
	s_and_saveexec_b32 s60, s59
	s_cbranch_execz .LBB8_368
.LBB8_372:                              ;   in Loop: Header=BB8_369 Depth=2
	s_sleep 1
	s_trap 2
	ds_read_b64 v[2:3], v0
	s_waitcnt lgkmcnt(0)
	buffer_gl0_inv
	s_andn2_b32 s57, s57, exec_lo
	v_cmp_ge_u64_e32 vcc_lo, v[2:3], v[24:25]
	s_orn2_b32 s61, vcc_lo, exec_lo
	s_branch .LBB8_368
.LBB8_373:                              ;   in Loop: Header=BB8_77 Depth=1
	s_inst_prefetch 0x2
	s_or_b32 exec_lo, exec_lo, s46
	s_and_saveexec_b32 s46, s47
	s_xor_b32 s46, exec_lo, s46
	s_cbranch_execz .LBB8_375
; %bb.374:                              ;   in Loop: Header=BB8_77 Depth=1
	ds_write_b32 v0, v66
	s_trap 2
.LBB8_375:                              ;   in Loop: Header=BB8_77 Depth=1
	s_or_b32 exec_lo, exec_lo, s23
	;;#ASMSTART
	s_wakeup
	;;#ASMEND
.LBB8_376:                              ;   in Loop: Header=BB8_77 Depth=1
	s_or_b32 exec_lo, exec_lo, s22
.LBB8_377:                              ;   in Loop: Header=BB8_77 Depth=1
	s_andn2_saveexec_b32 s21, s21
	s_cbranch_execz .LBB8_379
; %bb.378:                              ;   in Loop: Header=BB8_77 Depth=1
	s_waitcnt vmcnt(0) lgkmcnt(0)
	s_waitcnt_vscnt null, 0x0
	buffer_gl1_inv
	buffer_gl0_inv
	s_barrier
.LBB8_379:                              ;   in Loop: Header=BB8_77 Depth=1
	s_or_b32 exec_lo, exec_lo, s21
	s_or_b32 exec_lo, exec_lo, s20
                                        ; implicit-def: $vgpr2
	s_and_saveexec_b32 s20, s15
	s_xor_b32 s20, exec_lo, s20
	s_cbranch_execnz .LBB8_270
.LBB8_380:                              ;   in Loop: Header=BB8_77 Depth=1
	s_andn2_saveexec_b32 s19, s20
	s_cbranch_execz .LBB8_418
.LBB8_381:                              ;   in Loop: Header=BB8_77 Depth=1
	s_and_saveexec_b32 s20, s27
	s_xor_b32 s20, exec_lo, s20
	s_cbranch_execz .LBB8_415
; %bb.382:                              ;   in Loop: Header=BB8_77 Depth=1
	s_and_saveexec_b32 s21, s12
	s_cbranch_execz .LBB8_414
; %bb.383:                              ;   in Loop: Header=BB8_77 Depth=1
	s_mov_b32 s23, exec_lo
	s_mov_b32 s22, exec_lo
	v_mbcnt_lo_u32_b32 v2, s23, 0
	;;#ASMSTART
	s_waitcnt lgkmcnt(0) vmcnt(0)
	;;#ASMEND
	v_cmpx_eq_u32_e32 0, v2
	s_cbranch_execz .LBB8_385
; %bb.384:                              ;   in Loop: Header=BB8_77 Depth=1
	s_bcnt1_i32_b32 s23, s23
	v_mov_b32_e32 v3, v1
	v_mov_b32_e32 v2, s23
	s_waitcnt vmcnt(0) lgkmcnt(0)
	s_waitcnt_vscnt null, 0x0
	ds_add_u64 v0, v[2:3]
	s_trap 2
.LBB8_385:                              ;   in Loop: Header=BB8_77 Depth=1
	s_or_b32 exec_lo, exec_lo, s22
	s_trap 2
	ds_read_b64 v[2:3], v0
	s_waitcnt vmcnt(0) lgkmcnt(0)
	buffer_gl0_inv
	v_add_co_u32 v24, vcc_lo, v24, v55
	v_add_co_ci_u32_e64 v25, null, 0, v25, vcc_lo
	s_mov_b32 s22, exec_lo
	v_cmpx_lt_u64_e64 v[2:3], v[24:25]
	s_cbranch_execz .LBB8_413
; %bb.386:                              ;   in Loop: Header=BB8_77 Depth=1
	s_mov_b32 s23, 0
	s_mov_b32 s56, 0
                                        ; implicit-def: $sgpr46
                                        ; implicit-def: $sgpr47
	s_inst_prefetch 0x1
	s_branch .LBB8_388
	.p2align	6
.LBB8_387:                              ;   in Loop: Header=BB8_388 Depth=2
	s_or_b32 exec_lo, exec_lo, s58
	s_and_b32 s57, exec_lo, s59
	s_or_b32 s23, s57, s23
	s_andn2_b32 s46, s46, exec_lo
	s_and_b32 s57, s47, exec_lo
	s_or_b32 s46, s46, s57
	s_andn2_b32 exec_lo, exec_lo, s23
	s_cbranch_execz .LBB8_411
.LBB8_388:                              ;   Parent Loop BB8_77 Depth=1
                                        ; =>  This Inner Loop Header: Depth=2
	s_add_i32 s56, s56, 1
	s_cmpk_lg_i32 s56, 0x2710
	s_cselect_b32 s57, -1, 0
	s_and_b32 vcc_lo, exec_lo, s57
	s_cbranch_vccz .LBB8_390
; %bb.389:                              ;   in Loop: Header=BB8_388 Depth=2
	s_mov_b32 s59, -1
	s_or_b32 s47, s47, exec_lo
	s_and_saveexec_b32 s58, s57
	s_cbranch_execz .LBB8_387
	s_branch .LBB8_391
	.p2align	6
.LBB8_390:                              ;   in Loop: Header=BB8_388 Depth=2
	s_trap 2
	ds_read_b64 v[2:3], v0
	s_andn2_b32 s57, s57, exec_lo
	s_mov_b32 s56, 0
	s_waitcnt lgkmcnt(0)
	s_waitcnt_vscnt null, 0x0
	flat_load_dword v2, v[2:3] glc dlc
	s_waitcnt vmcnt(0) lgkmcnt(0)
	buffer_gl1_inv
	buffer_gl0_inv
	v_cmp_eq_u32_e32 vcc_lo, 0, v2
	s_and_b32 s58, vcc_lo, exec_lo
	s_or_b32 s57, s57, s58
	s_mov_b32 s59, -1
	s_or_b32 s47, s47, exec_lo
	s_and_saveexec_b32 s58, s57
	s_cbranch_execz .LBB8_387
.LBB8_391:                              ;   in Loop: Header=BB8_388 Depth=2
	s_sleep 1
	s_trap 2
	ds_read_b64 v[2:3], v0
	s_waitcnt lgkmcnt(0)
	buffer_gl0_inv
	s_andn2_b32 s47, s47, exec_lo
	v_cmp_ge_u64_e32 vcc_lo, v[2:3], v[24:25]
	s_orn2_b32 s59, vcc_lo, exec_lo
	s_branch .LBB8_387
.LBB8_392:                              ;   in Loop: Header=BB8_77 Depth=1
	s_inst_prefetch 0x2
	s_or_b32 exec_lo, exec_lo, s47
	s_and_saveexec_b32 s47, s56
	s_xor_b32 s47, exec_lo, s47
	s_cbranch_execz .LBB8_394
; %bb.393:                              ;   in Loop: Header=BB8_77 Depth=1
	ds_write_b32 v0, v66
	s_trap 2
.LBB8_394:                              ;   in Loop: Header=BB8_77 Depth=1
	s_or_b32 exec_lo, exec_lo, s23
	;;#ASMSTART
	s_wakeup
	;;#ASMEND
.LBB8_395:                              ;   in Loop: Header=BB8_77 Depth=1
	s_or_b32 exec_lo, exec_lo, s22
.LBB8_396:                              ;   in Loop: Header=BB8_77 Depth=1
	s_andn2_saveexec_b32 s21, s21
	s_cbranch_execz .LBB8_398
; %bb.397:                              ;   in Loop: Header=BB8_77 Depth=1
	s_waitcnt vmcnt(0) lgkmcnt(0)
	s_waitcnt_vscnt null, 0x0
	buffer_gl1_inv
	buffer_gl0_inv
	s_barrier
.LBB8_398:                              ;   in Loop: Header=BB8_77 Depth=1
	s_or_b32 exec_lo, exec_lo, s21
	s_or_b32 exec_lo, exec_lo, s20
                                        ; implicit-def: $vgpr2
	s_and_saveexec_b32 s20, s15
	s_xor_b32 s20, exec_lo, s20
	s_cbranch_execnz .LBB8_358
.LBB8_399:                              ;   in Loop: Header=BB8_77 Depth=1
	s_andn2_saveexec_b32 s19, s20
	s_cbranch_execz .LBB8_473
.LBB8_400:                              ;   in Loop: Header=BB8_77 Depth=1
	s_and_saveexec_b32 s20, s27
	s_xor_b32 s20, exec_lo, s20
	s_cbranch_execz .LBB8_470
; %bb.401:                              ;   in Loop: Header=BB8_77 Depth=1
	s_and_saveexec_b32 s21, s12
	s_cbranch_execz .LBB8_469
; %bb.402:                              ;   in Loop: Header=BB8_77 Depth=1
	s_mov_b32 s23, exec_lo
	s_mov_b32 s22, exec_lo
	v_mbcnt_lo_u32_b32 v2, s23, 0
	;;#ASMSTART
	s_waitcnt lgkmcnt(0) vmcnt(0)
	;;#ASMEND
	v_cmpx_eq_u32_e32 0, v2
	s_cbranch_execz .LBB8_404
; %bb.403:                              ;   in Loop: Header=BB8_77 Depth=1
	s_bcnt1_i32_b32 s23, s23
	v_mov_b32_e32 v3, v1
	v_mov_b32_e32 v2, s23
	s_waitcnt vmcnt(0) lgkmcnt(0)
	s_waitcnt_vscnt null, 0x0
	ds_add_u64 v0, v[2:3]
	s_trap 2
.LBB8_404:                              ;   in Loop: Header=BB8_77 Depth=1
	s_or_b32 exec_lo, exec_lo, s22
	s_trap 2
	ds_read_b64 v[2:3], v0
	s_waitcnt vmcnt(0) lgkmcnt(0)
	buffer_gl0_inv
	v_add_co_u32 v24, vcc_lo, v24, v55
	v_add_co_ci_u32_e64 v25, null, 0, v25, vcc_lo
	s_mov_b32 s22, exec_lo
	v_cmpx_lt_u64_e64 v[2:3], v[24:25]
	s_cbranch_execz .LBB8_468
; %bb.405:                              ;   in Loop: Header=BB8_77 Depth=1
	s_mov_b32 s23, 0
	s_mov_b32 s57, 0
                                        ; implicit-def: $sgpr47
                                        ; implicit-def: $sgpr56
	s_inst_prefetch 0x1
	s_branch .LBB8_407
	.p2align	6
.LBB8_406:                              ;   in Loop: Header=BB8_407 Depth=2
	s_or_b32 exec_lo, exec_lo, s59
	s_and_b32 s58, exec_lo, s60
	s_or_b32 s23, s58, s23
	s_andn2_b32 s47, s47, exec_lo
	s_and_b32 s58, s56, exec_lo
	s_or_b32 s47, s47, s58
	s_andn2_b32 exec_lo, exec_lo, s23
	s_cbranch_execz .LBB8_466
.LBB8_407:                              ;   Parent Loop BB8_77 Depth=1
                                        ; =>  This Inner Loop Header: Depth=2
	s_add_i32 s57, s57, 1
	s_cmpk_lg_i32 s57, 0x2710
	s_cselect_b32 s58, -1, 0
	s_and_b32 vcc_lo, exec_lo, s58
	s_cbranch_vccz .LBB8_409
; %bb.408:                              ;   in Loop: Header=BB8_407 Depth=2
	s_mov_b32 s60, -1
	s_or_b32 s56, s56, exec_lo
	s_and_saveexec_b32 s59, s58
	s_cbranch_execz .LBB8_406
	s_branch .LBB8_410
	.p2align	6
.LBB8_409:                              ;   in Loop: Header=BB8_407 Depth=2
	s_trap 2
	ds_read_b64 v[2:3], v0
	s_andn2_b32 s58, s58, exec_lo
	s_mov_b32 s57, 0
	s_waitcnt lgkmcnt(0)
	s_waitcnt_vscnt null, 0x0
	flat_load_dword v2, v[2:3] glc dlc
	s_waitcnt vmcnt(0) lgkmcnt(0)
	buffer_gl1_inv
	buffer_gl0_inv
	v_cmp_eq_u32_e32 vcc_lo, 0, v2
	s_and_b32 s59, vcc_lo, exec_lo
	s_or_b32 s58, s58, s59
	s_mov_b32 s60, -1
	s_or_b32 s56, s56, exec_lo
	s_and_saveexec_b32 s59, s58
	s_cbranch_execz .LBB8_406
.LBB8_410:                              ;   in Loop: Header=BB8_407 Depth=2
	s_sleep 1
	s_trap 2
	ds_read_b64 v[2:3], v0
	s_waitcnt lgkmcnt(0)
	buffer_gl0_inv
	s_andn2_b32 s56, s56, exec_lo
	v_cmp_ge_u64_e32 vcc_lo, v[2:3], v[24:25]
	s_orn2_b32 s60, vcc_lo, exec_lo
	s_branch .LBB8_406
.LBB8_411:                              ;   in Loop: Header=BB8_77 Depth=1
	s_inst_prefetch 0x2
	s_or_b32 exec_lo, exec_lo, s23
	s_and_saveexec_b32 s23, s46
	s_xor_b32 s23, exec_lo, s23
	s_cbranch_execz .LBB8_413
; %bb.412:                              ;   in Loop: Header=BB8_77 Depth=1
	ds_write_b32 v0, v66
	s_trap 2
.LBB8_413:                              ;   in Loop: Header=BB8_77 Depth=1
	s_or_b32 exec_lo, exec_lo, s22
	;;#ASMSTART
	s_wakeup
	;;#ASMEND
.LBB8_414:                              ;   in Loop: Header=BB8_77 Depth=1
	s_or_b32 exec_lo, exec_lo, s21
.LBB8_415:                              ;   in Loop: Header=BB8_77 Depth=1
	s_andn2_saveexec_b32 s20, s20
	s_cbranch_execz .LBB8_417
; %bb.416:                              ;   in Loop: Header=BB8_77 Depth=1
	;;#ASMSTART
	s_waitcnt lgkmcnt(0) vmcnt(0)
	;;#ASMEND
	s_barrier
.LBB8_417:                              ;   in Loop: Header=BB8_77 Depth=1
	s_or_b32 exec_lo, exec_lo, s20
	v_and_b32_e32 v2, 16, v52
.LBB8_418:                              ;   in Loop: Header=BB8_77 Depth=1
	s_or_b32 exec_lo, exec_lo, s19
	v_cmp_ne_u32_e32 vcc_lo, 0, v2
	s_xor_b32 s19, s10, -1
	s_and_b32 s20, vcc_lo, s19
	s_and_saveexec_b32 s19, s20
	s_cbranch_execz .LBB8_420
; %bb.419:                              ;   in Loop: Header=BB8_77 Depth=1
	s_waitcnt vmcnt(0) lgkmcnt(0)
	s_waitcnt_vscnt null, 0x0
	flat_store_dword v[26:27], v66
.LBB8_420:                              ;   in Loop: Header=BB8_77 Depth=1
	s_or_b32 exec_lo, exec_lo, s19
	v_and_b32_e32 v2, 48, v52
	s_mov_b32 s19, exec_lo
	v_cmpx_ne_u32_e32 0, v2
	s_cbranch_execz .LBB8_422
; %bb.421:                              ;   in Loop: Header=BB8_77 Depth=1
	v_add_co_u32 v8, vcc_lo, v8, 1
	v_add_co_ci_u32_e64 v9, null, 0, v9, vcc_lo
	s_waitcnt vmcnt(0) lgkmcnt(0)
	s_waitcnt_vscnt null, 0x0
	flat_store_dwordx2 v[20:21], v[8:9]
.LBB8_422:                              ;   in Loop: Header=BB8_77 Depth=1
	s_or_b32 exec_lo, exec_lo, s19
	v_mov_b32_e32 v10, v36
.LBB8_423:                              ;   in Loop: Header=BB8_77 Depth=1
	s_or_b32 exec_lo, exec_lo, s45
	s_mov_b32 s19, 0
	s_and_saveexec_b32 s20, s17
	s_cbranch_execz .LBB8_565
; %bb.424:                              ;   in Loop: Header=BB8_77 Depth=1
	v_sub_nc_u32_e32 v2, v101, v10
	v_and_b32_e32 v3, 12, v52
	s_mov_b32 s21, exec_lo
	v_min_i32_e32 v2, v36, v2
	v_cmpx_ne_u32_e32 0, v3
	s_cbranch_execz .LBB8_434
; %bb.425:                              ;   in Loop: Header=BB8_77 Depth=1
	v_and_b32_e32 v38, 8, v52
	s_mov_b32 s22, exec_lo
	s_waitcnt vmcnt(0) lgkmcnt(1)
	v_add_co_u32 v12, vcc_lo, v28, v38
	v_add_co_ci_u32_e64 v13, null, 0, v29, vcc_lo
	v_add_co_u32 v10, vcc_lo, v8, 1
	v_add_co_ci_u32_e64 v11, null, 0, v9, vcc_lo
	v_cmpx_lt_u64_e64 v[12:13], v[10:11]
	s_cbranch_execz .LBB8_442
; %bb.426:                              ;   in Loop: Header=BB8_77 Depth=1
	v_and_b32_e32 v3, 64, v52
	s_mov_b32 s23, 0
	s_mov_b32 s56, 0
                                        ; implicit-def: $sgpr45
                                        ; implicit-def: $sgpr46
                                        ; implicit-def: $sgpr47
	v_cmp_eq_u32_e32 vcc_lo, 0, v3
	s_branch .LBB8_430
.LBB8_427:                              ;   in Loop: Header=BB8_430 Depth=2
	s_waitcnt vmcnt(0) lgkmcnt(0)
	v_add_co_u32 v12, s19, v28, v38
	v_add_co_ci_u32_e64 v13, null, 0, v29, s19
	s_or_b32 s59, s59, exec_lo
	v_cmp_ge_u64_e64 s19, v[12:13], v[10:11]
	s_orn2_b32 s58, s19, exec_lo
.LBB8_428:                              ;   in Loop: Header=BB8_430 Depth=2
	s_or_b32 exec_lo, exec_lo, s61
	s_andn2_b32 s19, s47, exec_lo
	s_and_b32 s47, s59, exec_lo
	s_andn2_b32 s46, s46, exec_lo
	s_and_b32 s58, s58, exec_lo
	s_or_b32 s47, s19, s47
	s_or_b32 s46, s46, s58
.LBB8_429:                              ;   in Loop: Header=BB8_430 Depth=2
	s_or_b32 exec_lo, exec_lo, s57
	s_and_b32 s19, exec_lo, s46
	s_or_b32 s23, s19, s23
	s_andn2_b32 s19, s45, exec_lo
	s_and_b32 s45, s47, exec_lo
	s_or_b32 s45, s19, s45
	s_andn2_b32 exec_lo, exec_lo, s23
	s_cbranch_execz .LBB8_439
.LBB8_430:                              ;   Parent Loop BB8_77 Depth=1
                                        ; =>  This Inner Loop Header: Depth=2
	s_sleep 1
	s_waitcnt vmcnt(0) lgkmcnt(0)
	flat_load_dwordx2 v[28:29], v[20:21] glc dlc
	s_or_b32 s47, s47, exec_lo
	s_or_b32 s46, s46, exec_lo
                                        ; implicit-def: $vgpr3
	s_and_saveexec_b32 s57, vcc_lo
	s_cbranch_execz .LBB8_429
; %bb.431:                              ;   in Loop: Header=BB8_430 Depth=2
	s_cmpk_lt_i32 s56, 0x270f
	s_mov_b32 s58, -1
	s_cselect_b32 s60, -1, 0
	s_cmpk_gt_i32 s56, 0x270e
	s_cbranch_scc0 .LBB8_433
; %bb.432:                              ;   in Loop: Header=BB8_430 Depth=2
	s_trap 2
	ds_read_b64 v[12:13], v0
	s_andn2_b32 s56, s60, exec_lo
	s_mov_b32 s59, 0
	s_waitcnt vmcnt(0) lgkmcnt(0)
	s_waitcnt_vscnt null, 0x0
	flat_load_dword v3, v[12:13] glc dlc
	s_waitcnt vmcnt(0) lgkmcnt(0)
	buffer_gl1_inv
	buffer_gl0_inv
	v_cmp_eq_u32_e64 s19, 0, v3
	s_and_b32 s19, s19, exec_lo
	s_or_b32 s60, s56, s19
	s_mov_b32 s56, 0
	s_and_saveexec_b32 s61, s60
	s_cbranch_execz .LBB8_428
	s_branch .LBB8_427
.LBB8_433:                              ;   in Loop: Header=BB8_430 Depth=2
	s_add_i32 s56, s56, 1
	s_mov_b32 s59, -1
                                        ; implicit-def: $vgpr3
	s_and_saveexec_b32 s61, s60
	s_cbranch_execz .LBB8_428
	s_branch .LBB8_427
.LBB8_434:                              ;   in Loop: Header=BB8_77 Depth=1
	s_or_b32 exec_lo, exec_lo, s21
	s_and_saveexec_b32 s19, s7
	s_cbranch_execnz .LBB8_455
.LBB8_435:                              ;   in Loop: Header=BB8_77 Depth=1
	s_or_b32 exec_lo, exec_lo, s19
                                        ; implicit-def: $vgpr3
	s_and_saveexec_b32 s19, s15
	s_xor_b32 s21, exec_lo, s19
	s_cbranch_execz .LBB8_524
.LBB8_436:                              ;   in Loop: Header=BB8_77 Depth=1
	s_trap 2
	ds_read_b32 v3, v0
	v_cmp_lt_i32_e32 vcc_lo, 0, v2
	s_waitcnt lgkmcnt(0)
	v_readfirstlane_b32 s19, v3
	v_and_b32_e32 v3, 16, v52
	s_cmp_eq_u32 s19, 0
	v_cmp_ne_u32_e64 s19, 0, v3
	s_cselect_b32 s22, -1, 0
	v_and_b32_e32 v3, 16, v52
	s_and_b32 s22, vcc_lo, s22
	s_and_b32 s22, s19, s22
	s_and_saveexec_b32 s19, s22
	s_cbranch_execz .LBB8_438
; %bb.437:                              ;   in Loop: Header=BB8_77 Depth=1
	v_mov_b32_e32 v3, 1
	s_waitcnt vmcnt(0)
	s_waitcnt_vscnt null, 0x0
	buffer_gl1_inv
	buffer_gl0_inv
.LBB8_438:                              ;   in Loop: Header=BB8_77 Depth=1
	s_or_b32 exec_lo, exec_lo, s19
	s_andn2_saveexec_b32 s19, s21
	s_cbranch_execz .LBB8_562
	s_branch .LBB8_525
.LBB8_439:                              ;   in Loop: Header=BB8_77 Depth=1
	s_or_b32 exec_lo, exec_lo, s23
	s_xor_b32 s19, s45, -1
	s_and_saveexec_b32 s23, s19
	s_xor_b32 s19, exec_lo, s23
	s_cbranch_execz .LBB8_441
; %bb.440:                              ;   in Loop: Header=BB8_77 Depth=1
	v_or_b32_e32 v52, 64, v52
	s_waitcnt vmcnt(0) lgkmcnt(0)
	s_waitcnt_vscnt null, 0x0
	ds_write_b32 v0, v3
	s_trap 2
.LBB8_441:                              ;   in Loop: Header=BB8_77 Depth=1
	s_or_b32 exec_lo, exec_lo, s19
.LBB8_442:                              ;   in Loop: Header=BB8_77 Depth=1
	s_or_b32 exec_lo, exec_lo, s22
	v_and_b32_e32 v3, 0x108, v52
	s_mov_b32 s19, exec_lo
	;;#ASMSTART
	s_wakeup
	;;#ASMEND
                                        ; implicit-def: $vgpr12_vgpr13
	v_cmpx_ne_u32_e32 0x108, v3
	s_xor_b32 s19, exec_lo, s19
; %bb.443:                              ;   in Loop: Header=BB8_77 Depth=1
	v_and_b32_e32 v12, 7, v8
	v_mov_b32_e32 v13, v1
; %bb.444:                              ;   in Loop: Header=BB8_77 Depth=1
	s_andn2_saveexec_b32 s19, s19
	s_cbranch_execz .LBB8_446
; %bb.445:                              ;   in Loop: Header=BB8_77 Depth=1
	v_and_b32_e32 v12, 7, v8
	v_ashrrev_i32_e32 v3, 31, v2
	v_mov_b32_e32 v13, v1
	v_mad_u64_u32 v[8:9], null, v12, 24, v[6:7]
	flat_store_dwordx2 v[8:9], v[2:3] offset:8
.LBB8_446:                              ;   in Loop: Header=BB8_77 Depth=1
	s_or_b32 exec_lo, exec_lo, s19
	v_and_b32_e32 v3, 0x100, v52
	s_mov_b32 s19, -1
	s_mov_b32 s22, exec_lo
                                        ; implicit-def: $vgpr8_vgpr9
	v_cmpx_ne_u32_e32 0, v3
	s_cbranch_execz .LBB8_450
; %bb.447:                              ;   in Loop: Header=BB8_77 Depth=1
	v_mad_u64_u32 v[36:37], null, v12, 24, v[6:7]
	s_mov_b32 s23, exec_lo
	v_mov_b32_e32 v3, v37
	v_mad_u64_u32 v[8:9], null, v13, 24, v[3:4]
	v_mov_b32_e32 v37, v8
                                        ; implicit-def: $vgpr8_vgpr9
	flat_load_dword v3, v[36:37]
	s_waitcnt vmcnt(0) lgkmcnt(0)
	v_cmp_ne_u32_e32 vcc_lo, 1, v3
	v_cmpx_eq_u32_e32 1, v3
	s_cbranch_execz .LBB8_449
; %bb.448:                              ;   in Loop: Header=BB8_77 Depth=1
	flat_load_dword v8, v[36:37] offset:4 glc dlc
	s_waitcnt vmcnt(0) lgkmcnt(0)
	v_ashrrev_i32_e32 v9, 31, v8
.LBB8_449:                              ;   in Loop: Header=BB8_77 Depth=1
	s_or_b32 exec_lo, exec_lo, s23
	s_orn2_b32 s19, vcc_lo, exec_lo
.LBB8_450:                              ;   in Loop: Header=BB8_77 Depth=1
	s_or_b32 exec_lo, exec_lo, s22
	s_and_saveexec_b32 s22, s19
; %bb.451:                              ;   in Loop: Header=BB8_77 Depth=1
	v_mul_lo_u32 v3, v13, v53
	v_mul_lo_u32 v13, v12, v54
	v_mad_u64_u32 v[8:9], null, v12, v53, 0
	v_add3_u32 v9, v9, v13, v3
; %bb.452:                              ;   in Loop: Header=BB8_77 Depth=1
	s_or_b32 exec_lo, exec_lo, s22
	v_cmp_eq_u32_e32 vcc_lo, 0, v38
	v_and_b32_e32 v12, 0x2000, v52
	s_mov_b32 s19, exec_lo
	v_cndmask_b32_e32 v3, 0xd0, v67, vcc_lo
	v_add_co_u32 v8, vcc_lo, v22, v8
	v_add_co_ci_u32_e64 v9, null, v23, v9, vcc_lo
	v_add_nc_u32_e32 v3, v0, v3
	ds_write_b64 v3, v[8:9] offset:584
	v_cmpx_ne_u32_e32 0, v12
	s_cbranch_execz .LBB8_454
; %bb.453:                              ;   in Loop: Header=BB8_77 Depth=1
	ds_read_b64 v[8:9], v0 offset:872
	s_waitcnt lgkmcnt(0)
	v_add_co_u32 v8, vcc_lo, v8, 1
	v_add_co_ci_u32_e64 v9, null, 0, v9, vcc_lo
	ds_write_b64 v0, v[8:9] offset:872
.LBB8_454:                              ;   in Loop: Header=BB8_77 Depth=1
	s_or_b32 exec_lo, exec_lo, s19
	v_mov_b32_e32 v8, v10
	v_mov_b32_e32 v9, v11
	s_or_b32 exec_lo, exec_lo, s21
	s_and_saveexec_b32 s19, s7
	s_cbranch_execz .LBB8_435
.LBB8_455:                              ;   in Loop: Header=BB8_77 Depth=1
	s_and_saveexec_b32 s21, s27
	s_xor_b32 s21, exec_lo, s21
	s_cbranch_execz .LBB8_521
; %bb.456:                              ;   in Loop: Header=BB8_77 Depth=1
	s_and_saveexec_b32 s22, s12
	s_cbranch_execz .LBB8_520
; %bb.457:                              ;   in Loop: Header=BB8_77 Depth=1
	s_mov_b32 s45, exec_lo
	s_mov_b32 s23, exec_lo
	v_mbcnt_lo_u32_b32 v3, s45, 0
	s_waitcnt vmcnt(0) lgkmcnt(0)
	s_waitcnt_vscnt null, 0x0
	buffer_gl1_inv
	buffer_gl0_inv
	v_cmpx_eq_u32_e32 0, v3
	s_cbranch_execz .LBB8_459
; %bb.458:                              ;   in Loop: Header=BB8_77 Depth=1
	s_bcnt1_i32_b32 s45, s45
	v_mov_b32_e32 v11, v1
	v_mov_b32_e32 v10, s45
	ds_add_u64 v0, v[10:11]
	s_trap 2
.LBB8_459:                              ;   in Loop: Header=BB8_77 Depth=1
	s_or_b32 exec_lo, exec_lo, s23
	s_trap 2
	ds_read_b64 v[10:11], v0
	s_waitcnt lgkmcnt(0)
	buffer_gl0_inv
	v_add_co_u32 v24, vcc_lo, v24, v55
	v_add_co_ci_u32_e64 v25, null, 0, v25, vcc_lo
	s_mov_b32 s23, exec_lo
	v_cmpx_lt_u64_e64 v[10:11], v[24:25]
	s_cbranch_execz .LBB8_519
; %bb.460:                              ;   in Loop: Header=BB8_77 Depth=1
	s_mov_b32 s45, 0
	s_mov_b32 s56, 0
                                        ; implicit-def: $sgpr46
                                        ; implicit-def: $sgpr47
	s_inst_prefetch 0x1
	s_branch .LBB8_462
	.p2align	6
.LBB8_461:                              ;   in Loop: Header=BB8_462 Depth=2
	s_or_b32 exec_lo, exec_lo, s58
	s_and_b32 s57, exec_lo, s59
	s_or_b32 s45, s57, s45
	s_andn2_b32 s46, s46, exec_lo
	s_and_b32 s57, s47, exec_lo
	s_or_b32 s46, s46, s57
	s_andn2_b32 exec_lo, exec_lo, s45
	s_cbranch_execz .LBB8_517
.LBB8_462:                              ;   Parent Loop BB8_77 Depth=1
                                        ; =>  This Inner Loop Header: Depth=2
	s_add_i32 s56, s56, 1
	s_cmpk_lg_i32 s56, 0x2710
	s_cselect_b32 s57, -1, 0
	s_and_b32 vcc_lo, exec_lo, s57
	s_cbranch_vccz .LBB8_464
; %bb.463:                              ;   in Loop: Header=BB8_462 Depth=2
	s_mov_b32 s59, -1
	s_or_b32 s47, s47, exec_lo
	s_and_saveexec_b32 s58, s57
	s_cbranch_execz .LBB8_461
	s_branch .LBB8_465
	.p2align	6
.LBB8_464:                              ;   in Loop: Header=BB8_462 Depth=2
	s_trap 2
	ds_read_b64 v[10:11], v0
	s_andn2_b32 s57, s57, exec_lo
	s_mov_b32 s56, 0
	s_waitcnt lgkmcnt(0)
	flat_load_dword v3, v[10:11] glc dlc
	s_waitcnt vmcnt(0) lgkmcnt(0)
	buffer_gl1_inv
	buffer_gl0_inv
	v_cmp_eq_u32_e32 vcc_lo, 0, v3
	s_and_b32 s58, vcc_lo, exec_lo
	s_or_b32 s57, s57, s58
	s_mov_b32 s59, -1
	s_or_b32 s47, s47, exec_lo
	s_and_saveexec_b32 s58, s57
	s_cbranch_execz .LBB8_461
.LBB8_465:                              ;   in Loop: Header=BB8_462 Depth=2
	s_sleep 1
	s_trap 2
	ds_read_b64 v[10:11], v0
	s_waitcnt lgkmcnt(0)
	buffer_gl0_inv
	s_andn2_b32 s47, s47, exec_lo
	v_cmp_ge_u64_e32 vcc_lo, v[10:11], v[24:25]
	s_orn2_b32 s59, vcc_lo, exec_lo
	s_branch .LBB8_461
.LBB8_466:                              ;   in Loop: Header=BB8_77 Depth=1
	s_inst_prefetch 0x2
	s_or_b32 exec_lo, exec_lo, s23
	s_and_saveexec_b32 s23, s47
	s_xor_b32 s23, exec_lo, s23
	s_cbranch_execz .LBB8_468
; %bb.467:                              ;   in Loop: Header=BB8_77 Depth=1
	ds_write_b32 v0, v66
	s_trap 2
.LBB8_468:                              ;   in Loop: Header=BB8_77 Depth=1
	s_or_b32 exec_lo, exec_lo, s22
	;;#ASMSTART
	s_wakeup
	;;#ASMEND
.LBB8_469:                              ;   in Loop: Header=BB8_77 Depth=1
	s_or_b32 exec_lo, exec_lo, s21
.LBB8_470:                              ;   in Loop: Header=BB8_77 Depth=1
	s_andn2_saveexec_b32 s20, s20
	s_cbranch_execz .LBB8_472
; %bb.471:                              ;   in Loop: Header=BB8_77 Depth=1
	;;#ASMSTART
	s_waitcnt lgkmcnt(0) vmcnt(0)
	;;#ASMEND
	s_barrier
.LBB8_472:                              ;   in Loop: Header=BB8_77 Depth=1
	s_or_b32 exec_lo, exec_lo, s20
	v_and_b32_e32 v2, 16, v52
.LBB8_473:                              ;   in Loop: Header=BB8_77 Depth=1
	s_or_b32 exec_lo, exec_lo, s19
	s_mov_b32 s19, exec_lo
	v_cmpx_ne_u32_e32 0, v2
	s_cbranch_execz .LBB8_477
; %bb.474:                              ;   in Loop: Header=BB8_77 Depth=1
	s_and_saveexec_b32 s20, s11
	s_cbranch_execz .LBB8_476
; %bb.475:                              ;   in Loop: Header=BB8_77 Depth=1
	s_waitcnt vmcnt(0) lgkmcnt(0)
	s_waitcnt_vscnt null, 0x0
	flat_store_dword v[26:27], v66
.LBB8_476:                              ;   in Loop: Header=BB8_77 Depth=1
	s_or_b32 exec_lo, exec_lo, s20
	v_add_co_u32 v8, vcc_lo, v8, 1
	v_add_co_ci_u32_e64 v9, null, 0, v9, vcc_lo
	s_waitcnt vmcnt(0) lgkmcnt(0)
	s_waitcnt_vscnt null, 0x0
	flat_store_dwordx2 v[20:21], v[8:9]
.LBB8_477:                              ;   in Loop: Header=BB8_77 Depth=1
	s_or_b32 exec_lo, exec_lo, s19
	v_mov_b32_e32 v10, v36
.LBB8_478:                              ;   in Loop: Header=BB8_77 Depth=1
	s_or_b32 exec_lo, exec_lo, s46
	s_mov_b32 s19, 0
	s_mov_b32 s21, s43
	s_and_saveexec_b32 s20, s17
	s_cbranch_execz .LBB8_614
; %bb.479:                              ;   in Loop: Header=BB8_77 Depth=1
	v_sub_nc_u32_e32 v2, v101, v10
	v_and_b32_e32 v3, 8, v52
	s_mov_b32 s21, exec_lo
	v_min_i32_e32 v2, v36, v2
	v_cmpx_ne_u32_e32 0, v3
	s_cbranch_execz .LBB8_489
; %bb.480:                              ;   in Loop: Header=BB8_77 Depth=1
	s_waitcnt vmcnt(0) lgkmcnt(1)
	v_add_co_u32 v12, vcc_lo, v28, 8
	v_add_co_ci_u32_e64 v13, null, 0, v29, vcc_lo
	v_add_co_u32 v10, vcc_lo, v8, 1
	v_add_co_ci_u32_e64 v11, null, 0, v9, vcc_lo
	s_mov_b32 s22, exec_lo
	v_cmpx_lt_u64_e64 v[12:13], v[10:11]
	s_cbranch_execz .LBB8_497
; %bb.481:                              ;   in Loop: Header=BB8_77 Depth=1
	v_and_b32_e32 v3, 64, v52
	s_mov_b32 s23, 0
	s_mov_b32 s57, 0
                                        ; implicit-def: $sgpr46
                                        ; implicit-def: $sgpr47
                                        ; implicit-def: $sgpr56
	v_cmp_eq_u32_e32 vcc_lo, 0, v3
	s_branch .LBB8_485
.LBB8_482:                              ;   in Loop: Header=BB8_485 Depth=2
	s_waitcnt vmcnt(0) lgkmcnt(0)
	v_add_co_u32 v12, s19, v28, 8
	v_add_co_ci_u32_e64 v13, null, 0, v29, s19
	s_or_b32 s60, s60, exec_lo
	v_cmp_ge_u64_e64 s19, v[12:13], v[10:11]
	s_orn2_b32 s59, s19, exec_lo
.LBB8_483:                              ;   in Loop: Header=BB8_485 Depth=2
	s_or_b32 exec_lo, exec_lo, s62
	s_andn2_b32 s19, s56, exec_lo
	s_and_b32 s56, s60, exec_lo
	s_andn2_b32 s47, s47, exec_lo
	s_and_b32 s59, s59, exec_lo
	s_or_b32 s56, s19, s56
	s_or_b32 s47, s47, s59
.LBB8_484:                              ;   in Loop: Header=BB8_485 Depth=2
	s_or_b32 exec_lo, exec_lo, s58
	s_and_b32 s19, exec_lo, s47
	s_or_b32 s23, s19, s23
	s_andn2_b32 s19, s46, exec_lo
	s_and_b32 s46, s56, exec_lo
	s_or_b32 s46, s19, s46
	s_andn2_b32 exec_lo, exec_lo, s23
	s_cbranch_execz .LBB8_494
.LBB8_485:                              ;   Parent Loop BB8_77 Depth=1
                                        ; =>  This Inner Loop Header: Depth=2
	s_sleep 1
	s_waitcnt vmcnt(0) lgkmcnt(0)
	flat_load_dwordx2 v[28:29], v[20:21] glc dlc
	s_or_b32 s56, s56, exec_lo
	s_or_b32 s47, s47, exec_lo
                                        ; implicit-def: $vgpr3
	s_and_saveexec_b32 s58, vcc_lo
	s_cbranch_execz .LBB8_484
; %bb.486:                              ;   in Loop: Header=BB8_485 Depth=2
	s_cmpk_lt_i32 s57, 0x270f
	s_mov_b32 s59, -1
	s_cselect_b32 s61, -1, 0
	s_cmpk_gt_i32 s57, 0x270e
	s_cbranch_scc0 .LBB8_488
; %bb.487:                              ;   in Loop: Header=BB8_485 Depth=2
	s_trap 2
	ds_read_b64 v[12:13], v0
	s_andn2_b32 s57, s61, exec_lo
	s_mov_b32 s60, 0
	s_waitcnt vmcnt(0) lgkmcnt(0)
	s_waitcnt_vscnt null, 0x0
	flat_load_dword v3, v[12:13] glc dlc
	s_waitcnt vmcnt(0) lgkmcnt(0)
	buffer_gl1_inv
	buffer_gl0_inv
	v_cmp_eq_u32_e64 s19, 0, v3
	s_and_b32 s19, s19, exec_lo
	s_or_b32 s61, s57, s19
	s_mov_b32 s57, 0
	s_and_saveexec_b32 s62, s61
	s_cbranch_execz .LBB8_483
	s_branch .LBB8_482
.LBB8_488:                              ;   in Loop: Header=BB8_485 Depth=2
	s_add_i32 s57, s57, 1
	s_mov_b32 s60, -1
                                        ; implicit-def: $vgpr3
	s_and_saveexec_b32 s62, s61
	s_cbranch_execz .LBB8_483
	s_branch .LBB8_482
.LBB8_489:                              ;   in Loop: Header=BB8_77 Depth=1
	s_or_b32 exec_lo, exec_lo, s21
	s_and_saveexec_b32 s19, s7
	s_cbranch_execnz .LBB8_506
.LBB8_490:                              ;   in Loop: Header=BB8_77 Depth=1
	s_or_b32 exec_lo, exec_lo, s19
                                        ; implicit-def: $vgpr3
	s_and_saveexec_b32 s19, s15
	s_xor_b32 s21, exec_lo, s19
	s_cbranch_execz .LBB8_543
.LBB8_491:                              ;   in Loop: Header=BB8_77 Depth=1
	s_trap 2
	ds_read_b32 v3, v0
	v_cmp_lt_i32_e32 vcc_lo, 0, v2
	s_waitcnt lgkmcnt(0)
	v_readfirstlane_b32 s19, v3
	v_and_b32_e32 v3, 16, v52
	s_cmp_eq_u32 s19, 0
	v_cmp_ne_u32_e64 s19, 0, v3
	s_cselect_b32 s22, -1, 0
	v_and_b32_e32 v3, 16, v52
	s_and_b32 s22, vcc_lo, s22
	s_and_b32 s22, s19, s22
	s_and_saveexec_b32 s19, s22
	s_cbranch_execz .LBB8_493
; %bb.492:                              ;   in Loop: Header=BB8_77 Depth=1
	v_mov_b32_e32 v3, 1
	s_waitcnt vmcnt(0)
	s_waitcnt_vscnt null, 0x0
	buffer_gl1_inv
	buffer_gl0_inv
.LBB8_493:                              ;   in Loop: Header=BB8_77 Depth=1
	s_or_b32 exec_lo, exec_lo, s19
	s_andn2_saveexec_b32 s19, s21
	s_cbranch_execz .LBB8_611
	s_branch .LBB8_544
.LBB8_494:                              ;   in Loop: Header=BB8_77 Depth=1
	s_or_b32 exec_lo, exec_lo, s23
	s_xor_b32 s19, s46, -1
	s_and_saveexec_b32 s23, s19
	s_xor_b32 s19, exec_lo, s23
	s_cbranch_execz .LBB8_496
; %bb.495:                              ;   in Loop: Header=BB8_77 Depth=1
	v_or_b32_e32 v52, 64, v52
	s_waitcnt vmcnt(0) lgkmcnt(0)
	s_waitcnt_vscnt null, 0x0
	ds_write_b32 v0, v3
	s_trap 2
.LBB8_496:                              ;   in Loop: Header=BB8_77 Depth=1
	s_or_b32 exec_lo, exec_lo, s19
.LBB8_497:                              ;   in Loop: Header=BB8_77 Depth=1
	s_or_b32 exec_lo, exec_lo, s22
	v_and_b32_e32 v3, 0x100, v52
	v_and_b32_e32 v36, 7, v8
	s_mov_b32 s19, -1
	s_mov_b32 s22, exec_lo
	;;#ASMSTART
	s_wakeup
	;;#ASMEND
                                        ; implicit-def: $vgpr8_vgpr9
	v_cmpx_ne_u32_e32 0, v3
	s_cbranch_execz .LBB8_501
; %bb.498:                              ;   in Loop: Header=BB8_77 Depth=1
	v_mad_u64_u32 v[12:13], null, v36, 24, v[6:7]
	v_ashrrev_i32_e32 v3, 31, v2
	flat_load_dword v8, v[12:13]
	flat_store_dwordx2 v[12:13], v[2:3] offset:8
	s_waitcnt vmcnt(0) lgkmcnt(1)
	v_cmp_eq_u32_e64 s19, 1, v8
	v_cmp_ne_u32_e32 vcc_lo, 1, v8
                                        ; implicit-def: $vgpr8_vgpr9
	s_and_saveexec_b32 s23, s19
	s_cbranch_execz .LBB8_500
; %bb.499:                              ;   in Loop: Header=BB8_77 Depth=1
	flat_load_dword v8, v[12:13] offset:4 glc dlc
	s_waitcnt vmcnt(0) lgkmcnt(0)
	v_ashrrev_i32_e32 v9, 31, v8
.LBB8_500:                              ;   in Loop: Header=BB8_77 Depth=1
	s_or_b32 exec_lo, exec_lo, s23
	s_orn2_b32 s19, vcc_lo, exec_lo
.LBB8_501:                              ;   in Loop: Header=BB8_77 Depth=1
	s_or_b32 exec_lo, exec_lo, s22
	s_and_saveexec_b32 s22, s19
; %bb.502:                              ;   in Loop: Header=BB8_77 Depth=1
	v_mad_i64_i32 v[8:9], null, v36, v53, 0
; %bb.503:                              ;   in Loop: Header=BB8_77 Depth=1
	s_or_b32 exec_lo, exec_lo, s22
	v_add_co_u32 v8, vcc_lo, v22, v8
	v_and_b32_e32 v3, 0x2000, v52
	v_add_co_ci_u32_e64 v9, null, v23, v9, vcc_lo
	s_mov_b32 s19, exec_lo
	ds_write_b64 v0, v[8:9] offset:792
	v_cmpx_ne_u32_e32 0, v3
	s_cbranch_execz .LBB8_505
; %bb.504:                              ;   in Loop: Header=BB8_77 Depth=1
	ds_read_b64 v[8:9], v0 offset:872
	s_waitcnt lgkmcnt(0)
	v_add_co_u32 v8, vcc_lo, v8, 1
	v_add_co_ci_u32_e64 v9, null, 0, v9, vcc_lo
	ds_write_b64 v0, v[8:9] offset:872
.LBB8_505:                              ;   in Loop: Header=BB8_77 Depth=1
	s_or_b32 exec_lo, exec_lo, s19
	v_mov_b32_e32 v8, v10
	v_mov_b32_e32 v9, v11
	s_or_b32 exec_lo, exec_lo, s21
	s_and_saveexec_b32 s19, s7
	s_cbranch_execz .LBB8_490
.LBB8_506:                              ;   in Loop: Header=BB8_77 Depth=1
	s_and_saveexec_b32 s21, s27
	s_xor_b32 s21, exec_lo, s21
	s_cbranch_execz .LBB8_540
; %bb.507:                              ;   in Loop: Header=BB8_77 Depth=1
	s_and_saveexec_b32 s22, s12
	s_cbranch_execz .LBB8_539
; %bb.508:                              ;   in Loop: Header=BB8_77 Depth=1
	s_mov_b32 s46, exec_lo
	s_mov_b32 s23, exec_lo
	v_mbcnt_lo_u32_b32 v3, s46, 0
	s_waitcnt vmcnt(0) lgkmcnt(0)
	s_waitcnt_vscnt null, 0x0
	buffer_gl1_inv
	buffer_gl0_inv
	v_cmpx_eq_u32_e32 0, v3
	s_cbranch_execz .LBB8_510
; %bb.509:                              ;   in Loop: Header=BB8_77 Depth=1
	s_bcnt1_i32_b32 s46, s46
	v_mov_b32_e32 v11, v1
	v_mov_b32_e32 v10, s46
	ds_add_u64 v0, v[10:11]
	s_trap 2
.LBB8_510:                              ;   in Loop: Header=BB8_77 Depth=1
	s_or_b32 exec_lo, exec_lo, s23
	s_trap 2
	ds_read_b64 v[10:11], v0
	s_waitcnt lgkmcnt(0)
	buffer_gl0_inv
	v_add_co_u32 v24, vcc_lo, v24, v55
	v_add_co_ci_u32_e64 v25, null, 0, v25, vcc_lo
	s_mov_b32 s23, exec_lo
	v_cmpx_lt_u64_e64 v[10:11], v[24:25]
	s_cbranch_execz .LBB8_538
; %bb.511:                              ;   in Loop: Header=BB8_77 Depth=1
	s_mov_b32 s46, 0
	s_mov_b32 s57, 0
                                        ; implicit-def: $sgpr47
                                        ; implicit-def: $sgpr56
	s_inst_prefetch 0x1
	s_branch .LBB8_513
	.p2align	6
.LBB8_512:                              ;   in Loop: Header=BB8_513 Depth=2
	s_or_b32 exec_lo, exec_lo, s59
	s_and_b32 s58, exec_lo, s60
	s_or_b32 s46, s58, s46
	s_andn2_b32 s47, s47, exec_lo
	s_and_b32 s58, s56, exec_lo
	s_or_b32 s47, s47, s58
	s_andn2_b32 exec_lo, exec_lo, s46
	s_cbranch_execz .LBB8_536
.LBB8_513:                              ;   Parent Loop BB8_77 Depth=1
                                        ; =>  This Inner Loop Header: Depth=2
	s_add_i32 s57, s57, 1
	s_cmpk_lg_i32 s57, 0x2710
	s_cselect_b32 s58, -1, 0
	s_and_b32 vcc_lo, exec_lo, s58
	s_cbranch_vccz .LBB8_515
; %bb.514:                              ;   in Loop: Header=BB8_513 Depth=2
	s_mov_b32 s60, -1
	s_or_b32 s56, s56, exec_lo
	s_and_saveexec_b32 s59, s58
	s_cbranch_execz .LBB8_512
	s_branch .LBB8_516
	.p2align	6
.LBB8_515:                              ;   in Loop: Header=BB8_513 Depth=2
	s_trap 2
	ds_read_b64 v[10:11], v0
	s_andn2_b32 s58, s58, exec_lo
	s_mov_b32 s57, 0
	s_waitcnt lgkmcnt(0)
	flat_load_dword v3, v[10:11] glc dlc
	s_waitcnt vmcnt(0) lgkmcnt(0)
	buffer_gl1_inv
	buffer_gl0_inv
	v_cmp_eq_u32_e32 vcc_lo, 0, v3
	s_and_b32 s59, vcc_lo, exec_lo
	s_or_b32 s58, s58, s59
	s_mov_b32 s60, -1
	s_or_b32 s56, s56, exec_lo
	s_and_saveexec_b32 s59, s58
	s_cbranch_execz .LBB8_512
.LBB8_516:                              ;   in Loop: Header=BB8_513 Depth=2
	s_sleep 1
	s_trap 2
	ds_read_b64 v[10:11], v0
	s_waitcnt lgkmcnt(0)
	buffer_gl0_inv
	s_andn2_b32 s56, s56, exec_lo
	v_cmp_ge_u64_e32 vcc_lo, v[10:11], v[24:25]
	s_orn2_b32 s60, vcc_lo, exec_lo
	s_branch .LBB8_512
.LBB8_517:                              ;   in Loop: Header=BB8_77 Depth=1
	s_inst_prefetch 0x2
	s_or_b32 exec_lo, exec_lo, s45
	s_and_saveexec_b32 s45, s46
	s_xor_b32 s45, exec_lo, s45
	s_cbranch_execz .LBB8_519
; %bb.518:                              ;   in Loop: Header=BB8_77 Depth=1
	ds_write_b32 v0, v66
	s_trap 2
.LBB8_519:                              ;   in Loop: Header=BB8_77 Depth=1
	s_or_b32 exec_lo, exec_lo, s23
	;;#ASMSTART
	s_wakeup
	;;#ASMEND
.LBB8_520:                              ;   in Loop: Header=BB8_77 Depth=1
	s_or_b32 exec_lo, exec_lo, s22
.LBB8_521:                              ;   in Loop: Header=BB8_77 Depth=1
	s_andn2_saveexec_b32 s21, s21
	s_cbranch_execz .LBB8_523
; %bb.522:                              ;   in Loop: Header=BB8_77 Depth=1
	s_waitcnt vmcnt(0) lgkmcnt(0)
	s_waitcnt_vscnt null, 0x0
	buffer_gl1_inv
	buffer_gl0_inv
	s_barrier
.LBB8_523:                              ;   in Loop: Header=BB8_77 Depth=1
	s_or_b32 exec_lo, exec_lo, s21
	s_or_b32 exec_lo, exec_lo, s19
                                        ; implicit-def: $vgpr3
	s_and_saveexec_b32 s19, s15
	s_xor_b32 s21, exec_lo, s19
	s_cbranch_execnz .LBB8_436
.LBB8_524:                              ;   in Loop: Header=BB8_77 Depth=1
	s_andn2_saveexec_b32 s19, s21
	s_cbranch_execz .LBB8_562
.LBB8_525:                              ;   in Loop: Header=BB8_77 Depth=1
	s_and_saveexec_b32 s21, s27
	s_xor_b32 s21, exec_lo, s21
	s_cbranch_execz .LBB8_559
; %bb.526:                              ;   in Loop: Header=BB8_77 Depth=1
	s_and_saveexec_b32 s22, s12
	s_cbranch_execz .LBB8_558
; %bb.527:                              ;   in Loop: Header=BB8_77 Depth=1
	s_mov_b32 s45, exec_lo
	s_mov_b32 s23, exec_lo
	v_mbcnt_lo_u32_b32 v2, s45, 0
	;;#ASMSTART
	s_waitcnt lgkmcnt(0) vmcnt(0)
	;;#ASMEND
	v_cmpx_eq_u32_e32 0, v2
	s_cbranch_execz .LBB8_529
; %bb.528:                              ;   in Loop: Header=BB8_77 Depth=1
	s_bcnt1_i32_b32 s45, s45
	v_mov_b32_e32 v3, v1
	v_mov_b32_e32 v2, s45
	s_waitcnt vmcnt(0) lgkmcnt(0)
	s_waitcnt_vscnt null, 0x0
	ds_add_u64 v0, v[2:3]
	s_trap 2
.LBB8_529:                              ;   in Loop: Header=BB8_77 Depth=1
	s_or_b32 exec_lo, exec_lo, s23
	s_trap 2
	ds_read_b64 v[2:3], v0
	s_waitcnt vmcnt(0) lgkmcnt(0)
	buffer_gl0_inv
	v_add_co_u32 v24, vcc_lo, v24, v55
	v_add_co_ci_u32_e64 v25, null, 0, v25, vcc_lo
	s_mov_b32 s23, exec_lo
	v_cmpx_lt_u64_e64 v[2:3], v[24:25]
	s_cbranch_execz .LBB8_557
; %bb.530:                              ;   in Loop: Header=BB8_77 Depth=1
	s_mov_b32 s45, 0
	s_mov_b32 s56, 0
                                        ; implicit-def: $sgpr46
                                        ; implicit-def: $sgpr47
	s_inst_prefetch 0x1
	s_branch .LBB8_532
	.p2align	6
.LBB8_531:                              ;   in Loop: Header=BB8_532 Depth=2
	s_or_b32 exec_lo, exec_lo, s58
	s_and_b32 s57, exec_lo, s59
	s_or_b32 s45, s57, s45
	s_andn2_b32 s46, s46, exec_lo
	s_and_b32 s57, s47, exec_lo
	s_or_b32 s46, s46, s57
	s_andn2_b32 exec_lo, exec_lo, s45
	s_cbranch_execz .LBB8_555
.LBB8_532:                              ;   Parent Loop BB8_77 Depth=1
                                        ; =>  This Inner Loop Header: Depth=2
	s_add_i32 s56, s56, 1
	s_cmpk_lg_i32 s56, 0x2710
	s_cselect_b32 s57, -1, 0
	s_and_b32 vcc_lo, exec_lo, s57
	s_cbranch_vccz .LBB8_534
; %bb.533:                              ;   in Loop: Header=BB8_532 Depth=2
	s_mov_b32 s59, -1
	s_or_b32 s47, s47, exec_lo
	s_and_saveexec_b32 s58, s57
	s_cbranch_execz .LBB8_531
	s_branch .LBB8_535
	.p2align	6
.LBB8_534:                              ;   in Loop: Header=BB8_532 Depth=2
	s_trap 2
	ds_read_b64 v[2:3], v0
	s_andn2_b32 s57, s57, exec_lo
	s_mov_b32 s56, 0
	s_waitcnt lgkmcnt(0)
	s_waitcnt_vscnt null, 0x0
	flat_load_dword v2, v[2:3] glc dlc
	s_waitcnt vmcnt(0) lgkmcnt(0)
	buffer_gl1_inv
	buffer_gl0_inv
	v_cmp_eq_u32_e32 vcc_lo, 0, v2
	s_and_b32 s58, vcc_lo, exec_lo
	s_or_b32 s57, s57, s58
	s_mov_b32 s59, -1
	s_or_b32 s47, s47, exec_lo
	s_and_saveexec_b32 s58, s57
	s_cbranch_execz .LBB8_531
.LBB8_535:                              ;   in Loop: Header=BB8_532 Depth=2
	s_sleep 1
	s_trap 2
	ds_read_b64 v[2:3], v0
	s_waitcnt lgkmcnt(0)
	buffer_gl0_inv
	s_andn2_b32 s47, s47, exec_lo
	v_cmp_ge_u64_e32 vcc_lo, v[2:3], v[24:25]
	s_orn2_b32 s59, vcc_lo, exec_lo
	s_branch .LBB8_531
.LBB8_536:                              ;   in Loop: Header=BB8_77 Depth=1
	s_inst_prefetch 0x2
	s_or_b32 exec_lo, exec_lo, s46
	s_and_saveexec_b32 s46, s47
	s_xor_b32 s46, exec_lo, s46
	s_cbranch_execz .LBB8_538
; %bb.537:                              ;   in Loop: Header=BB8_77 Depth=1
	ds_write_b32 v0, v66
	s_trap 2
.LBB8_538:                              ;   in Loop: Header=BB8_77 Depth=1
	s_or_b32 exec_lo, exec_lo, s23
	;;#ASMSTART
	s_wakeup
	;;#ASMEND
.LBB8_539:                              ;   in Loop: Header=BB8_77 Depth=1
	s_or_b32 exec_lo, exec_lo, s22
.LBB8_540:                              ;   in Loop: Header=BB8_77 Depth=1
	s_andn2_saveexec_b32 s21, s21
	s_cbranch_execz .LBB8_542
; %bb.541:                              ;   in Loop: Header=BB8_77 Depth=1
	s_waitcnt vmcnt(0) lgkmcnt(0)
	s_waitcnt_vscnt null, 0x0
	buffer_gl1_inv
	buffer_gl0_inv
	s_barrier
.LBB8_542:                              ;   in Loop: Header=BB8_77 Depth=1
	s_or_b32 exec_lo, exec_lo, s21
	s_or_b32 exec_lo, exec_lo, s19
                                        ; implicit-def: $vgpr3
	s_and_saveexec_b32 s19, s15
	s_xor_b32 s21, exec_lo, s19
	s_cbranch_execnz .LBB8_491
.LBB8_543:                              ;   in Loop: Header=BB8_77 Depth=1
	s_andn2_saveexec_b32 s19, s21
	s_cbranch_execz .LBB8_611
.LBB8_544:                              ;   in Loop: Header=BB8_77 Depth=1
	s_and_saveexec_b32 s21, s27
	s_xor_b32 s21, exec_lo, s21
	s_cbranch_execz .LBB8_608
; %bb.545:                              ;   in Loop: Header=BB8_77 Depth=1
	s_and_saveexec_b32 s22, s12
	s_cbranch_execz .LBB8_607
; %bb.546:                              ;   in Loop: Header=BB8_77 Depth=1
	s_mov_b32 s46, exec_lo
	s_mov_b32 s23, exec_lo
	v_mbcnt_lo_u32_b32 v2, s46, 0
	;;#ASMSTART
	s_waitcnt lgkmcnt(0) vmcnt(0)
	;;#ASMEND
	v_cmpx_eq_u32_e32 0, v2
	s_cbranch_execz .LBB8_548
; %bb.547:                              ;   in Loop: Header=BB8_77 Depth=1
	s_bcnt1_i32_b32 s46, s46
	v_mov_b32_e32 v3, v1
	v_mov_b32_e32 v2, s46
	s_waitcnt vmcnt(0) lgkmcnt(0)
	s_waitcnt_vscnt null, 0x0
	ds_add_u64 v0, v[2:3]
	s_trap 2
.LBB8_548:                              ;   in Loop: Header=BB8_77 Depth=1
	s_or_b32 exec_lo, exec_lo, s23
	s_trap 2
	ds_read_b64 v[2:3], v0
	s_waitcnt vmcnt(0) lgkmcnt(0)
	buffer_gl0_inv
	v_add_co_u32 v24, vcc_lo, v24, v55
	v_add_co_ci_u32_e64 v25, null, 0, v25, vcc_lo
	s_mov_b32 s23, exec_lo
	v_cmpx_lt_u64_e64 v[2:3], v[24:25]
	s_cbranch_execz .LBB8_606
; %bb.549:                              ;   in Loop: Header=BB8_77 Depth=1
	s_mov_b32 s46, 0
	s_mov_b32 s57, 0
                                        ; implicit-def: $sgpr47
                                        ; implicit-def: $sgpr56
	s_inst_prefetch 0x1
	s_branch .LBB8_551
	.p2align	6
.LBB8_550:                              ;   in Loop: Header=BB8_551 Depth=2
	s_or_b32 exec_lo, exec_lo, s59
	s_and_b32 s58, exec_lo, s60
	s_or_b32 s46, s58, s46
	s_andn2_b32 s47, s47, exec_lo
	s_and_b32 s58, s56, exec_lo
	s_or_b32 s47, s47, s58
	s_andn2_b32 exec_lo, exec_lo, s46
	s_cbranch_execz .LBB8_604
.LBB8_551:                              ;   Parent Loop BB8_77 Depth=1
                                        ; =>  This Inner Loop Header: Depth=2
	s_add_i32 s57, s57, 1
	s_cmpk_lg_i32 s57, 0x2710
	s_cselect_b32 s58, -1, 0
	s_and_b32 vcc_lo, exec_lo, s58
	s_cbranch_vccz .LBB8_553
; %bb.552:                              ;   in Loop: Header=BB8_551 Depth=2
	s_mov_b32 s60, -1
	s_or_b32 s56, s56, exec_lo
	s_and_saveexec_b32 s59, s58
	s_cbranch_execz .LBB8_550
	s_branch .LBB8_554
	.p2align	6
.LBB8_553:                              ;   in Loop: Header=BB8_551 Depth=2
	s_trap 2
	ds_read_b64 v[2:3], v0
	s_andn2_b32 s58, s58, exec_lo
	s_mov_b32 s57, 0
	s_waitcnt lgkmcnt(0)
	s_waitcnt_vscnt null, 0x0
	flat_load_dword v2, v[2:3] glc dlc
	s_waitcnt vmcnt(0) lgkmcnt(0)
	buffer_gl1_inv
	buffer_gl0_inv
	v_cmp_eq_u32_e32 vcc_lo, 0, v2
	s_and_b32 s59, vcc_lo, exec_lo
	s_or_b32 s58, s58, s59
	s_mov_b32 s60, -1
	s_or_b32 s56, s56, exec_lo
	s_and_saveexec_b32 s59, s58
	s_cbranch_execz .LBB8_550
.LBB8_554:                              ;   in Loop: Header=BB8_551 Depth=2
	s_sleep 1
	s_trap 2
	ds_read_b64 v[2:3], v0
	s_waitcnt lgkmcnt(0)
	buffer_gl0_inv
	s_andn2_b32 s56, s56, exec_lo
	v_cmp_ge_u64_e32 vcc_lo, v[2:3], v[24:25]
	s_orn2_b32 s60, vcc_lo, exec_lo
	s_branch .LBB8_550
.LBB8_555:                              ;   in Loop: Header=BB8_77 Depth=1
	s_inst_prefetch 0x2
	s_or_b32 exec_lo, exec_lo, s45
	s_and_saveexec_b32 s45, s46
	s_xor_b32 s45, exec_lo, s45
	s_cbranch_execz .LBB8_557
; %bb.556:                              ;   in Loop: Header=BB8_77 Depth=1
	ds_write_b32 v0, v66
	s_trap 2
.LBB8_557:                              ;   in Loop: Header=BB8_77 Depth=1
	s_or_b32 exec_lo, exec_lo, s23
	;;#ASMSTART
	s_wakeup
	;;#ASMEND
.LBB8_558:                              ;   in Loop: Header=BB8_77 Depth=1
	s_or_b32 exec_lo, exec_lo, s22
.LBB8_559:                              ;   in Loop: Header=BB8_77 Depth=1
	s_andn2_saveexec_b32 s21, s21
	s_cbranch_execz .LBB8_561
; %bb.560:                              ;   in Loop: Header=BB8_77 Depth=1
	;;#ASMSTART
	s_waitcnt lgkmcnt(0) vmcnt(0)
	;;#ASMEND
	s_barrier
.LBB8_561:                              ;   in Loop: Header=BB8_77 Depth=1
	s_or_b32 exec_lo, exec_lo, s21
	v_and_b32_e32 v3, 16, v52
.LBB8_562:                              ;   in Loop: Header=BB8_77 Depth=1
	s_or_b32 exec_lo, exec_lo, s19
	v_cmp_ne_u32_e32 vcc_lo, 0, v3
	s_xor_b32 s19, s10, -1
	s_and_b32 s21, vcc_lo, s19
	s_and_saveexec_b32 s19, s21
	s_cbranch_execz .LBB8_564
; %bb.563:                              ;   in Loop: Header=BB8_77 Depth=1
	s_waitcnt vmcnt(0) lgkmcnt(0)
	s_waitcnt_vscnt null, 0x0
	flat_store_dword v[26:27], v66
.LBB8_564:                              ;   in Loop: Header=BB8_77 Depth=1
	s_or_b32 exec_lo, exec_lo, s19
	v_and_b32_e32 v2, 48, v52
	v_cmp_ne_u32_e32 vcc_lo, 0, v2
	s_and_b32 s19, vcc_lo, exec_lo
.LBB8_565:                              ;   in Loop: Header=BB8_77 Depth=1
	s_or_b32 exec_lo, exec_lo, s20
	s_and_b32 s21, s19, exec_lo
                                        ; implicit-def: $vgpr36
                                        ; implicit-def: $vgpr101
                                        ; implicit-def: $vgpr2
                                        ; implicit-def: $vgpr3
.LBB8_566:                              ;   in Loop: Header=BB8_77 Depth=1
	s_andn2_saveexec_b32 s22, s43
	s_cbranch_execz .LBB8_996
; %bb.567:                              ;   in Loop: Header=BB8_77 Depth=1
	v_mov_b32_e32 v12, 0
	s_and_saveexec_b32 s23, s18
	s_cbranch_execz .LBB8_845
; %bb.568:                              ;   in Loop: Header=BB8_77 Depth=1
	s_and_saveexec_b32 s20, s4
	s_cbranch_execz .LBB8_570
; %bb.569:                              ;   in Loop: Header=BB8_77 Depth=1
	s_trap 2
	ds_read_b128 v[10:13], v0
	s_waitcnt lgkmcnt(0)
	v_add_co_u32 v37, vcc_lo, v12, v2
	v_add_co_ci_u32_e64 v38, null, v13, v3, vcc_lo
	v_cmp_ne_u64_e32 vcc_lo, 0, v[12:13]
	v_add_co_u32 v2, s19, v10, v2
	v_add_co_ci_u32_e64 v3, null, v11, v3, s19
	v_cndmask_b32_e32 v11, 0, v38, vcc_lo
	v_cndmask_b32_e32 v10, 0, v37, vcc_lo
	ds_write_b64 v0, v[2:3]
	ds_write_b64 v0, v[10:11]
.LBB8_570:                              ;   in Loop: Header=BB8_77 Depth=1
	s_or_b32 exec_lo, exec_lo, s20
	v_and_b32_e32 v2, 4, v52
	s_mov_b32 s20, exec_lo
	v_cmpx_ne_u32_e32 0, v2
	s_cbranch_execz .LBB8_592
; %bb.571:                              ;   in Loop: Header=BB8_77 Depth=1
	v_add_co_u32 v2, vcc_lo, v8, 1
	v_add_co_ci_u32_e64 v3, null, 0, v9, vcc_lo
	s_mov_b32 s43, exec_lo
	s_waitcnt vmcnt(0) lgkmcnt(1)
	v_cmpx_lt_u64_e64 v[28:29], v[2:3]
	s_cbranch_execz .LBB8_583
; %bb.572:                              ;   in Loop: Header=BB8_77 Depth=1
	v_and_b32_e32 v9, 64, v52
	s_mov_b32 s45, 0
	s_mov_b32 s57, 0
                                        ; implicit-def: $sgpr46
                                        ; implicit-def: $sgpr47
                                        ; implicit-def: $sgpr56
	v_cmp_eq_u32_e32 vcc_lo, 0, v9
	s_branch .LBB8_576
.LBB8_573:                              ;   in Loop: Header=BB8_576 Depth=2
	s_waitcnt vmcnt(0) lgkmcnt(0)
	v_cmp_ge_u64_e64 s19, v[28:29], v[2:3]
	s_or_b32 s60, s60, exec_lo
	s_orn2_b32 s59, s19, exec_lo
.LBB8_574:                              ;   in Loop: Header=BB8_576 Depth=2
	s_or_b32 exec_lo, exec_lo, s62
	s_andn2_b32 s19, s56, exec_lo
	s_and_b32 s56, s60, exec_lo
	s_andn2_b32 s47, s47, exec_lo
	s_and_b32 s59, s59, exec_lo
	s_or_b32 s56, s19, s56
	s_or_b32 s47, s47, s59
.LBB8_575:                              ;   in Loop: Header=BB8_576 Depth=2
	s_or_b32 exec_lo, exec_lo, s58
	s_and_b32 s19, exec_lo, s47
	s_or_b32 s45, s19, s45
	s_andn2_b32 s19, s46, exec_lo
	s_and_b32 s46, s56, exec_lo
	s_or_b32 s46, s19, s46
	s_andn2_b32 exec_lo, exec_lo, s45
	s_cbranch_execz .LBB8_580
.LBB8_576:                              ;   Parent Loop BB8_77 Depth=1
                                        ; =>  This Inner Loop Header: Depth=2
	s_sleep 1
	s_waitcnt vmcnt(0) lgkmcnt(0)
	flat_load_dwordx2 v[28:29], v[20:21] glc dlc
	s_or_b32 s56, s56, exec_lo
	s_or_b32 s47, s47, exec_lo
                                        ; implicit-def: $vgpr9
	s_and_saveexec_b32 s58, vcc_lo
	s_cbranch_execz .LBB8_575
; %bb.577:                              ;   in Loop: Header=BB8_576 Depth=2
	s_cmpk_lt_i32 s57, 0x270f
	s_mov_b32 s59, -1
	s_cselect_b32 s61, -1, 0
	s_cmpk_gt_i32 s57, 0x270e
	s_cbranch_scc0 .LBB8_579
; %bb.578:                              ;   in Loop: Header=BB8_576 Depth=2
	s_trap 2
	ds_read_b64 v[9:10], v0
	s_andn2_b32 s57, s61, exec_lo
	s_mov_b32 s60, 0
	s_waitcnt vmcnt(0) lgkmcnt(0)
	s_waitcnt_vscnt null, 0x0
	flat_load_dword v9, v[9:10] glc dlc
	s_waitcnt vmcnt(0) lgkmcnt(0)
	buffer_gl1_inv
	buffer_gl0_inv
	v_cmp_eq_u32_e64 s19, 0, v9
	s_and_b32 s19, s19, exec_lo
	s_or_b32 s61, s57, s19
	s_mov_b32 s57, 0
	s_and_saveexec_b32 s62, s61
	s_cbranch_execz .LBB8_574
	s_branch .LBB8_573
.LBB8_579:                              ;   in Loop: Header=BB8_576 Depth=2
	s_add_i32 s57, s57, 1
	s_mov_b32 s60, -1
                                        ; implicit-def: $vgpr9
	s_and_saveexec_b32 s62, s61
	s_cbranch_execz .LBB8_574
	s_branch .LBB8_573
.LBB8_580:                              ;   in Loop: Header=BB8_77 Depth=1
	s_or_b32 exec_lo, exec_lo, s45
	s_xor_b32 s19, s46, -1
	s_and_saveexec_b32 s45, s19
	s_xor_b32 s19, exec_lo, s45
	s_cbranch_execz .LBB8_582
; %bb.581:                              ;   in Loop: Header=BB8_77 Depth=1
	v_or_b32_e32 v52, 64, v52
	s_waitcnt vmcnt(0) lgkmcnt(0)
	s_waitcnt_vscnt null, 0x0
	ds_write_b32 v0, v9
	s_trap 2
.LBB8_582:                              ;   in Loop: Header=BB8_77 Depth=1
	s_or_b32 exec_lo, exec_lo, s19
.LBB8_583:                              ;   in Loop: Header=BB8_77 Depth=1
	s_or_b32 exec_lo, exec_lo, s43
	v_and_b32_e32 v9, 0x100, v52
	v_and_b32_e32 v12, 7, v8
	s_mov_b32 s19, -1
	;;#ASMSTART
	s_wakeup
	;;#ASMEND
	v_cmp_ne_u32_e32 vcc_lo, 0, v9
                                        ; implicit-def: $vgpr8_vgpr9
	s_and_saveexec_b32 s43, vcc_lo
	s_cbranch_execz .LBB8_587
; %bb.584:                              ;   in Loop: Header=BB8_77 Depth=1
	v_mad_u64_u32 v[10:11], null, v12, 24, v[6:7]
	flat_load_dword v8, v[10:11]
	s_waitcnt vmcnt(0) lgkmcnt(0)
	v_cmp_eq_u32_e64 s19, 1, v8
	v_cmp_ne_u32_e32 vcc_lo, 1, v8
                                        ; implicit-def: $vgpr8_vgpr9
	s_and_saveexec_b32 s45, s19
	s_cbranch_execz .LBB8_586
; %bb.585:                              ;   in Loop: Header=BB8_77 Depth=1
	flat_load_dword v8, v[10:11] offset:4 glc dlc
	s_waitcnt vmcnt(0) lgkmcnt(0)
	v_ashrrev_i32_e32 v9, 31, v8
.LBB8_586:                              ;   in Loop: Header=BB8_77 Depth=1
	s_or_b32 exec_lo, exec_lo, s45
	s_orn2_b32 s19, vcc_lo, exec_lo
.LBB8_587:                              ;   in Loop: Header=BB8_77 Depth=1
	s_or_b32 exec_lo, exec_lo, s43
	s_and_saveexec_b32 s43, s19
; %bb.588:                              ;   in Loop: Header=BB8_77 Depth=1
	v_mad_i64_i32 v[8:9], null, v12, v53, 0
; %bb.589:                              ;   in Loop: Header=BB8_77 Depth=1
	s_or_b32 exec_lo, exec_lo, s43
	v_add_co_u32 v8, vcc_lo, v22, v8
	v_and_b32_e32 v10, 0x2000, v52
	v_add_co_ci_u32_e64 v9, null, v23, v9, vcc_lo
	s_mov_b32 s19, exec_lo
	ds_write_b64 v0, v[8:9] offset:720
	v_cmpx_ne_u32_e32 0, v10
	s_cbranch_execz .LBB8_591
; %bb.590:                              ;   in Loop: Header=BB8_77 Depth=1
	ds_read_b64 v[8:9], v0 offset:872
	s_waitcnt lgkmcnt(0)
	v_add_co_u32 v8, vcc_lo, v8, 1
	v_add_co_ci_u32_e64 v9, null, 0, v9, vcc_lo
	ds_write_b64 v0, v[8:9] offset:872
.LBB8_591:                              ;   in Loop: Header=BB8_77 Depth=1
	s_or_b32 exec_lo, exec_lo, s19
	v_mov_b32_e32 v9, v3
	v_mov_b32_e32 v8, v2
.LBB8_592:                              ;   in Loop: Header=BB8_77 Depth=1
	s_or_b32 exec_lo, exec_lo, s20
	s_and_saveexec_b32 s19, s7
	s_cbranch_execz .LBB8_660
; %bb.593:                              ;   in Loop: Header=BB8_77 Depth=1
	s_and_saveexec_b32 s20, s27
	s_xor_b32 s20, exec_lo, s20
	s_cbranch_execz .LBB8_657
; %bb.594:                              ;   in Loop: Header=BB8_77 Depth=1
	s_and_saveexec_b32 s43, s12
	s_cbranch_execz .LBB8_656
; %bb.595:                              ;   in Loop: Header=BB8_77 Depth=1
	s_mov_b32 s46, exec_lo
	s_mov_b32 s45, exec_lo
	v_mbcnt_lo_u32_b32 v2, s46, 0
	s_waitcnt vmcnt(0) lgkmcnt(0)
	s_waitcnt_vscnt null, 0x0
	buffer_gl1_inv
	buffer_gl0_inv
	v_cmpx_eq_u32_e32 0, v2
	s_cbranch_execz .LBB8_597
; %bb.596:                              ;   in Loop: Header=BB8_77 Depth=1
	s_bcnt1_i32_b32 s46, s46
	v_mov_b32_e32 v3, v1
	v_mov_b32_e32 v2, s46
	ds_add_u64 v0, v[2:3]
	s_trap 2
.LBB8_597:                              ;   in Loop: Header=BB8_77 Depth=1
	s_or_b32 exec_lo, exec_lo, s45
	s_trap 2
	ds_read_b64 v[2:3], v0
	s_waitcnt lgkmcnt(0)
	buffer_gl0_inv
	v_add_co_u32 v24, vcc_lo, v24, v55
	v_add_co_ci_u32_e64 v25, null, 0, v25, vcc_lo
	s_mov_b32 s45, exec_lo
	v_cmpx_lt_u64_e64 v[2:3], v[24:25]
	s_cbranch_execz .LBB8_655
; %bb.598:                              ;   in Loop: Header=BB8_77 Depth=1
	s_mov_b32 s46, 0
	s_mov_b32 s57, 0
                                        ; implicit-def: $sgpr47
                                        ; implicit-def: $sgpr56
	s_inst_prefetch 0x1
	s_branch .LBB8_600
	.p2align	6
.LBB8_599:                              ;   in Loop: Header=BB8_600 Depth=2
	s_or_b32 exec_lo, exec_lo, s59
	s_and_b32 s58, exec_lo, s60
	s_or_b32 s46, s58, s46
	s_andn2_b32 s47, s47, exec_lo
	s_and_b32 s58, s56, exec_lo
	s_or_b32 s47, s47, s58
	s_andn2_b32 exec_lo, exec_lo, s46
	s_cbranch_execz .LBB8_653
.LBB8_600:                              ;   Parent Loop BB8_77 Depth=1
                                        ; =>  This Inner Loop Header: Depth=2
	s_add_i32 s57, s57, 1
	s_cmpk_lg_i32 s57, 0x2710
	s_cselect_b32 s58, -1, 0
	s_and_b32 vcc_lo, exec_lo, s58
	s_cbranch_vccz .LBB8_602
; %bb.601:                              ;   in Loop: Header=BB8_600 Depth=2
	s_mov_b32 s60, -1
	s_or_b32 s56, s56, exec_lo
	s_and_saveexec_b32 s59, s58
	s_cbranch_execz .LBB8_599
	s_branch .LBB8_603
	.p2align	6
.LBB8_602:                              ;   in Loop: Header=BB8_600 Depth=2
	s_trap 2
	ds_read_b64 v[2:3], v0
	s_andn2_b32 s58, s58, exec_lo
	s_mov_b32 s57, 0
	s_waitcnt lgkmcnt(0)
	flat_load_dword v2, v[2:3] glc dlc
	s_waitcnt vmcnt(0) lgkmcnt(0)
	buffer_gl1_inv
	buffer_gl0_inv
	v_cmp_eq_u32_e32 vcc_lo, 0, v2
	s_and_b32 s59, vcc_lo, exec_lo
	s_or_b32 s58, s58, s59
	s_mov_b32 s60, -1
	s_or_b32 s56, s56, exec_lo
	s_and_saveexec_b32 s59, s58
	s_cbranch_execz .LBB8_599
.LBB8_603:                              ;   in Loop: Header=BB8_600 Depth=2
	s_sleep 1
	s_trap 2
	ds_read_b64 v[2:3], v0
	s_waitcnt lgkmcnt(0)
	buffer_gl0_inv
	s_andn2_b32 s56, s56, exec_lo
	v_cmp_ge_u64_e32 vcc_lo, v[2:3], v[24:25]
	s_orn2_b32 s60, vcc_lo, exec_lo
	s_branch .LBB8_599
.LBB8_604:                              ;   in Loop: Header=BB8_77 Depth=1
	s_inst_prefetch 0x2
	s_or_b32 exec_lo, exec_lo, s46
	s_and_saveexec_b32 s46, s47
	s_xor_b32 s46, exec_lo, s46
	s_cbranch_execz .LBB8_606
; %bb.605:                              ;   in Loop: Header=BB8_77 Depth=1
	ds_write_b32 v0, v66
	s_trap 2
.LBB8_606:                              ;   in Loop: Header=BB8_77 Depth=1
	s_or_b32 exec_lo, exec_lo, s23
	;;#ASMSTART
	s_wakeup
	;;#ASMEND
.LBB8_607:                              ;   in Loop: Header=BB8_77 Depth=1
	s_or_b32 exec_lo, exec_lo, s22
.LBB8_608:                              ;   in Loop: Header=BB8_77 Depth=1
	s_andn2_saveexec_b32 s21, s21
	s_cbranch_execz .LBB8_610
; %bb.609:                              ;   in Loop: Header=BB8_77 Depth=1
	;;#ASMSTART
	s_waitcnt lgkmcnt(0) vmcnt(0)
	;;#ASMEND
	s_barrier
.LBB8_610:                              ;   in Loop: Header=BB8_77 Depth=1
	s_or_b32 exec_lo, exec_lo, s21
	v_and_b32_e32 v3, 16, v52
.LBB8_611:                              ;   in Loop: Header=BB8_77 Depth=1
	s_or_b32 exec_lo, exec_lo, s19
	s_mov_b32 s19, 0
	s_mov_b32 s21, s43
	s_mov_b32 s22, exec_lo
	v_cmpx_ne_u32_e32 0, v3
	s_xor_b32 s22, exec_lo, s22
; %bb.612:                              ;   in Loop: Header=BB8_77 Depth=1
	s_andn2_b32 s19, s43, exec_lo
	s_and_b32 s21, s10, exec_lo
	s_or_b32 s21, s19, s21
	s_and_b32 s19, s11, exec_lo
; %bb.613:                              ;   in Loop: Header=BB8_77 Depth=1
	s_or_b32 exec_lo, exec_lo, s22
	s_andn2_b32 s22, s43, exec_lo
	s_and_b32 s21, s21, exec_lo
	s_and_b32 s19, s19, exec_lo
	s_or_b32 s21, s22, s21
.LBB8_614:                              ;   in Loop: Header=BB8_77 Depth=1
	s_or_b32 exec_lo, exec_lo, s20
	s_andn2_b32 s20, s43, exec_lo
	s_and_b32 s21, s21, exec_lo
                                        ; implicit-def: $vgpr36
                                        ; implicit-def: $vgpr101
                                        ; implicit-def: $vgpr2
                                        ; implicit-def: $vgpr3
	s_or_b32 s20, s20, s21
	s_and_b32 s21, s19, exec_lo
.LBB8_615:                              ;   in Loop: Header=BB8_77 Depth=1
	s_andn2_saveexec_b32 s22, s45
	s_cbranch_execz .LBB8_984
; %bb.616:                              ;   in Loop: Header=BB8_77 Depth=1
	v_mov_b32_e32 v10, 0
	s_and_saveexec_b32 s23, s18
	s_cbranch_execz .LBB8_896
; %bb.617:                              ;   in Loop: Header=BB8_77 Depth=1
	s_and_saveexec_b32 s18, s4
	s_cbranch_execz .LBB8_619
; %bb.618:                              ;   in Loop: Header=BB8_77 Depth=1
	s_trap 2
	ds_read_b64 v[10:11], v0
	s_waitcnt lgkmcnt(0)
	v_add_co_u32 v10, vcc_lo, v10, v2
	v_add_co_ci_u32_e64 v11, null, v11, v3, vcc_lo
	v_mov_b32_e32 v2, v1
	ds_write_b64 v0, v[10:11]
	ds_write_b64 v0, v[1:2]
.LBB8_619:                              ;   in Loop: Header=BB8_77 Depth=1
	s_or_b32 exec_lo, exec_lo, s18
	v_and_b32_e32 v2, 8, v52
	v_min_i32_e32 v36, v36, v101
	s_mov_b32 s19, exec_lo
	v_cmpx_ne_u32_e32 0, v2
	s_cbranch_execz .LBB8_641
; %bb.620:                              ;   in Loop: Header=BB8_77 Depth=1
	s_waitcnt vmcnt(0) lgkmcnt(1)
	v_add_co_u32 v10, vcc_lo, v28, 8
	v_add_co_ci_u32_e64 v11, null, 0, v29, vcc_lo
	v_add_co_u32 v2, vcc_lo, v8, 1
	v_add_co_ci_u32_e64 v3, null, 0, v9, vcc_lo
	s_mov_b32 s45, exec_lo
	v_cmpx_lt_u64_e64 v[10:11], v[2:3]
	s_cbranch_execz .LBB8_632
; %bb.621:                              ;   in Loop: Header=BB8_77 Depth=1
	v_and_b32_e32 v9, 64, v52
	s_mov_b32 s46, 0
	s_mov_b32 s58, 0
                                        ; implicit-def: $sgpr47
                                        ; implicit-def: $sgpr56
                                        ; implicit-def: $sgpr57
	v_cmp_eq_u32_e32 vcc_lo, 0, v9
	s_branch .LBB8_625
.LBB8_622:                              ;   in Loop: Header=BB8_625 Depth=2
	s_waitcnt vmcnt(0) lgkmcnt(0)
	v_add_co_u32 v10, s18, v28, 8
	v_add_co_ci_u32_e64 v11, null, 0, v29, s18
	s_or_b32 s61, s61, exec_lo
	v_cmp_ge_u64_e64 s18, v[10:11], v[2:3]
	s_orn2_b32 s60, s18, exec_lo
.LBB8_623:                              ;   in Loop: Header=BB8_625 Depth=2
	s_or_b32 exec_lo, exec_lo, s63
	s_andn2_b32 s18, s57, exec_lo
	s_and_b32 s57, s61, exec_lo
	s_andn2_b32 s56, s56, exec_lo
	s_and_b32 s60, s60, exec_lo
	s_or_b32 s57, s18, s57
	s_or_b32 s56, s56, s60
.LBB8_624:                              ;   in Loop: Header=BB8_625 Depth=2
	s_or_b32 exec_lo, exec_lo, s59
	s_and_b32 s18, exec_lo, s56
	s_or_b32 s46, s18, s46
	s_andn2_b32 s18, s47, exec_lo
	s_and_b32 s47, s57, exec_lo
	s_or_b32 s47, s18, s47
	s_andn2_b32 exec_lo, exec_lo, s46
	s_cbranch_execz .LBB8_629
.LBB8_625:                              ;   Parent Loop BB8_77 Depth=1
                                        ; =>  This Inner Loop Header: Depth=2
	s_sleep 1
	s_waitcnt vmcnt(0) lgkmcnt(0)
	flat_load_dwordx2 v[28:29], v[20:21] glc dlc
	s_or_b32 s57, s57, exec_lo
	s_or_b32 s56, s56, exec_lo
                                        ; implicit-def: $vgpr9
	s_and_saveexec_b32 s59, vcc_lo
	s_cbranch_execz .LBB8_624
; %bb.626:                              ;   in Loop: Header=BB8_625 Depth=2
	s_cmpk_lt_i32 s58, 0x270f
	s_mov_b32 s60, -1
	s_cselect_b32 s62, -1, 0
	s_cmpk_gt_i32 s58, 0x270e
	s_cbranch_scc0 .LBB8_628
; %bb.627:                              ;   in Loop: Header=BB8_625 Depth=2
	s_trap 2
	ds_read_b64 v[9:10], v0
	s_andn2_b32 s58, s62, exec_lo
	s_mov_b32 s61, 0
	s_waitcnt vmcnt(0) lgkmcnt(0)
	s_waitcnt_vscnt null, 0x0
	flat_load_dword v9, v[9:10] glc dlc
	s_waitcnt vmcnt(0) lgkmcnt(0)
	buffer_gl1_inv
	buffer_gl0_inv
	v_cmp_eq_u32_e64 s18, 0, v9
	s_and_b32 s18, s18, exec_lo
	s_or_b32 s62, s58, s18
	s_mov_b32 s58, 0
	s_and_saveexec_b32 s63, s62
	s_cbranch_execz .LBB8_623
	s_branch .LBB8_622
.LBB8_628:                              ;   in Loop: Header=BB8_625 Depth=2
	s_add_i32 s58, s58, 1
	s_mov_b32 s61, -1
                                        ; implicit-def: $vgpr9
	s_and_saveexec_b32 s63, s62
	s_cbranch_execz .LBB8_623
	s_branch .LBB8_622
.LBB8_629:                              ;   in Loop: Header=BB8_77 Depth=1
	s_or_b32 exec_lo, exec_lo, s46
	s_xor_b32 s18, s47, -1
	s_and_saveexec_b32 s46, s18
	s_xor_b32 s18, exec_lo, s46
	s_cbranch_execz .LBB8_631
; %bb.630:                              ;   in Loop: Header=BB8_77 Depth=1
	v_or_b32_e32 v52, 64, v52
	s_waitcnt vmcnt(0) lgkmcnt(0)
	s_waitcnt_vscnt null, 0x0
	ds_write_b32 v0, v9
	s_trap 2
.LBB8_631:                              ;   in Loop: Header=BB8_77 Depth=1
	s_or_b32 exec_lo, exec_lo, s18
.LBB8_632:                              ;   in Loop: Header=BB8_77 Depth=1
	s_or_b32 exec_lo, exec_lo, s45
	v_and_b32_e32 v9, 0x100, v52
	v_and_b32_e32 v12, 7, v8
	s_mov_b32 s18, -1
	;;#ASMSTART
	s_wakeup
	;;#ASMEND
	v_cmp_ne_u32_e32 vcc_lo, 0, v9
                                        ; implicit-def: $vgpr8_vgpr9
	s_and_saveexec_b32 s45, vcc_lo
	s_cbranch_execz .LBB8_636
; %bb.633:                              ;   in Loop: Header=BB8_77 Depth=1
	v_mad_u64_u32 v[10:11], null, v12, 24, v[6:7]
	v_ashrrev_i32_e32 v37, 31, v36
	flat_load_dword v8, v[10:11]
	flat_store_dwordx2 v[10:11], v[36:37] offset:8
	s_waitcnt vmcnt(0) lgkmcnt(1)
	v_cmp_eq_u32_e64 s18, 1, v8
	v_cmp_ne_u32_e32 vcc_lo, 1, v8
                                        ; implicit-def: $vgpr8_vgpr9
	s_and_saveexec_b32 s46, s18
	s_cbranch_execz .LBB8_635
; %bb.634:                              ;   in Loop: Header=BB8_77 Depth=1
	flat_load_dword v8, v[10:11] offset:4 glc dlc
	s_waitcnt vmcnt(0) lgkmcnt(0)
	v_ashrrev_i32_e32 v9, 31, v8
.LBB8_635:                              ;   in Loop: Header=BB8_77 Depth=1
	s_or_b32 exec_lo, exec_lo, s46
	s_orn2_b32 s18, vcc_lo, exec_lo
.LBB8_636:                              ;   in Loop: Header=BB8_77 Depth=1
	s_or_b32 exec_lo, exec_lo, s45
	s_and_saveexec_b32 s45, s18
; %bb.637:                              ;   in Loop: Header=BB8_77 Depth=1
	v_mad_i64_i32 v[8:9], null, v12, v53, 0
; %bb.638:                              ;   in Loop: Header=BB8_77 Depth=1
	s_or_b32 exec_lo, exec_lo, s45
	v_add_co_u32 v8, vcc_lo, v22, v8
	v_and_b32_e32 v10, 0x2000, v52
	v_add_co_ci_u32_e64 v9, null, v23, v9, vcc_lo
	s_mov_b32 s18, exec_lo
	ds_write_b64 v0, v[8:9] offset:784
	v_cmpx_ne_u32_e32 0, v10
	s_cbranch_execz .LBB8_640
; %bb.639:                              ;   in Loop: Header=BB8_77 Depth=1
	ds_read_b64 v[8:9], v0 offset:872
	s_waitcnt lgkmcnt(0)
	v_add_co_u32 v8, vcc_lo, v8, 1
	v_add_co_ci_u32_e64 v9, null, 0, v9, vcc_lo
	ds_write_b64 v0, v[8:9] offset:872
.LBB8_640:                              ;   in Loop: Header=BB8_77 Depth=1
	s_or_b32 exec_lo, exec_lo, s18
	v_mov_b32_e32 v9, v3
	v_mov_b32_e32 v8, v2
.LBB8_641:                              ;   in Loop: Header=BB8_77 Depth=1
	s_or_b32 exec_lo, exec_lo, s19
	s_and_saveexec_b32 s18, s7
	s_cbranch_execz .LBB8_679
; %bb.642:                              ;   in Loop: Header=BB8_77 Depth=1
	s_and_saveexec_b32 s19, s27
	s_xor_b32 s19, exec_lo, s19
	s_cbranch_execz .LBB8_676
; %bb.643:                              ;   in Loop: Header=BB8_77 Depth=1
	s_and_saveexec_b32 s45, s12
	s_cbranch_execz .LBB8_675
; %bb.644:                              ;   in Loop: Header=BB8_77 Depth=1
	s_mov_b32 s47, exec_lo
	s_mov_b32 s46, exec_lo
	v_mbcnt_lo_u32_b32 v2, s47, 0
	s_waitcnt vmcnt(0) lgkmcnt(0)
	s_waitcnt_vscnt null, 0x0
	buffer_gl1_inv
	buffer_gl0_inv
	v_cmpx_eq_u32_e32 0, v2
	s_cbranch_execz .LBB8_646
; %bb.645:                              ;   in Loop: Header=BB8_77 Depth=1
	s_bcnt1_i32_b32 s47, s47
	v_mov_b32_e32 v3, v1
	v_mov_b32_e32 v2, s47
	ds_add_u64 v0, v[2:3]
	s_trap 2
.LBB8_646:                              ;   in Loop: Header=BB8_77 Depth=1
	s_or_b32 exec_lo, exec_lo, s46
	s_trap 2
	ds_read_b64 v[2:3], v0
	s_waitcnt lgkmcnt(0)
	buffer_gl0_inv
	v_add_co_u32 v24, vcc_lo, v24, v55
	v_add_co_ci_u32_e64 v25, null, 0, v25, vcc_lo
	s_mov_b32 s46, exec_lo
	v_cmpx_lt_u64_e64 v[2:3], v[24:25]
	s_cbranch_execz .LBB8_674
; %bb.647:                              ;   in Loop: Header=BB8_77 Depth=1
	s_mov_b32 s47, 0
	s_mov_b32 s58, 0
                                        ; implicit-def: $sgpr56
                                        ; implicit-def: $sgpr57
	s_inst_prefetch 0x1
	s_branch .LBB8_649
	.p2align	6
.LBB8_648:                              ;   in Loop: Header=BB8_649 Depth=2
	s_or_b32 exec_lo, exec_lo, s60
	s_and_b32 s59, exec_lo, s61
	s_or_b32 s47, s59, s47
	s_andn2_b32 s56, s56, exec_lo
	s_and_b32 s59, s57, exec_lo
	s_or_b32 s56, s56, s59
	s_andn2_b32 exec_lo, exec_lo, s47
	s_cbranch_execz .LBB8_672
.LBB8_649:                              ;   Parent Loop BB8_77 Depth=1
                                        ; =>  This Inner Loop Header: Depth=2
	s_add_i32 s58, s58, 1
	s_cmpk_lg_i32 s58, 0x2710
	s_cselect_b32 s59, -1, 0
	s_and_b32 vcc_lo, exec_lo, s59
	s_cbranch_vccz .LBB8_651
; %bb.650:                              ;   in Loop: Header=BB8_649 Depth=2
	s_mov_b32 s61, -1
	s_or_b32 s57, s57, exec_lo
	s_and_saveexec_b32 s60, s59
	s_cbranch_execz .LBB8_648
	s_branch .LBB8_652
	.p2align	6
.LBB8_651:                              ;   in Loop: Header=BB8_649 Depth=2
	s_trap 2
	ds_read_b64 v[2:3], v0
	s_andn2_b32 s59, s59, exec_lo
	s_mov_b32 s58, 0
	s_waitcnt lgkmcnt(0)
	flat_load_dword v2, v[2:3] glc dlc
	s_waitcnt vmcnt(0) lgkmcnt(0)
	buffer_gl1_inv
	buffer_gl0_inv
	v_cmp_eq_u32_e32 vcc_lo, 0, v2
	s_and_b32 s60, vcc_lo, exec_lo
	s_or_b32 s59, s59, s60
	s_mov_b32 s61, -1
	s_or_b32 s57, s57, exec_lo
	s_and_saveexec_b32 s60, s59
	s_cbranch_execz .LBB8_648
.LBB8_652:                              ;   in Loop: Header=BB8_649 Depth=2
	s_sleep 1
	s_trap 2
	ds_read_b64 v[2:3], v0
	s_waitcnt lgkmcnt(0)
	buffer_gl0_inv
	s_andn2_b32 s57, s57, exec_lo
	v_cmp_ge_u64_e32 vcc_lo, v[2:3], v[24:25]
	s_orn2_b32 s61, vcc_lo, exec_lo
	s_branch .LBB8_648
.LBB8_653:                              ;   in Loop: Header=BB8_77 Depth=1
	s_inst_prefetch 0x2
	s_or_b32 exec_lo, exec_lo, s46
	s_and_saveexec_b32 s46, s47
	s_xor_b32 s46, exec_lo, s46
	s_cbranch_execz .LBB8_655
; %bb.654:                              ;   in Loop: Header=BB8_77 Depth=1
	ds_write_b32 v0, v66
	s_trap 2
.LBB8_655:                              ;   in Loop: Header=BB8_77 Depth=1
	s_or_b32 exec_lo, exec_lo, s45
	;;#ASMSTART
	s_wakeup
	;;#ASMEND
.LBB8_656:                              ;   in Loop: Header=BB8_77 Depth=1
	s_or_b32 exec_lo, exec_lo, s43
.LBB8_657:                              ;   in Loop: Header=BB8_77 Depth=1
	s_andn2_saveexec_b32 s20, s20
	s_cbranch_execz .LBB8_659
; %bb.658:                              ;   in Loop: Header=BB8_77 Depth=1
	s_waitcnt vmcnt(0) lgkmcnt(0)
	s_waitcnt_vscnt null, 0x0
	buffer_gl1_inv
	buffer_gl0_inv
	s_barrier
.LBB8_659:                              ;   in Loop: Header=BB8_77 Depth=1
	s_or_b32 exec_lo, exec_lo, s20
.LBB8_660:                              ;   in Loop: Header=BB8_77 Depth=1
	s_or_b32 exec_lo, exec_lo, s19
	s_trap 2
	ds_read_b32 v12, v0
	v_and_b32_e32 v2, 0x4000, v52
	v_cmp_ne_u32_e32 vcc_lo, 0, v2
	s_and_b32 s20, s42, vcc_lo
	s_and_saveexec_b32 s19, s20
	s_cbranch_execz .LBB8_698
; %bb.661:                              ;   in Loop: Header=BB8_77 Depth=1
	s_and_saveexec_b32 s20, s27
	s_xor_b32 s20, exec_lo, s20
	s_cbranch_execz .LBB8_695
; %bb.662:                              ;   in Loop: Header=BB8_77 Depth=1
	s_and_saveexec_b32 s43, s12
	s_cbranch_execz .LBB8_694
; %bb.663:                              ;   in Loop: Header=BB8_77 Depth=1
	s_mov_b32 s46, exec_lo
	s_mov_b32 s45, exec_lo
	v_mbcnt_lo_u32_b32 v2, s46, 0
	s_waitcnt vmcnt(0) lgkmcnt(0)
	s_waitcnt_vscnt null, 0x0
	buffer_gl1_inv
	buffer_gl0_inv
	v_cmpx_eq_u32_e32 0, v2
	s_cbranch_execz .LBB8_665
; %bb.664:                              ;   in Loop: Header=BB8_77 Depth=1
	s_bcnt1_i32_b32 s46, s46
	v_mov_b32_e32 v3, v1
	v_mov_b32_e32 v2, s46
	ds_add_u64 v0, v[2:3]
	s_trap 2
.LBB8_665:                              ;   in Loop: Header=BB8_77 Depth=1
	s_or_b32 exec_lo, exec_lo, s45
	s_trap 2
	ds_read_b64 v[2:3], v0
	s_waitcnt lgkmcnt(0)
	buffer_gl0_inv
	v_add_co_u32 v24, vcc_lo, v24, v55
	v_add_co_ci_u32_e64 v25, null, 0, v25, vcc_lo
	s_mov_b32 s45, exec_lo
	v_cmpx_lt_u64_e64 v[2:3], v[24:25]
	s_cbranch_execz .LBB8_693
; %bb.666:                              ;   in Loop: Header=BB8_77 Depth=1
	s_mov_b32 s46, 0
	s_mov_b32 s57, 0
                                        ; implicit-def: $sgpr47
                                        ; implicit-def: $sgpr56
	s_inst_prefetch 0x1
	s_branch .LBB8_668
	.p2align	6
.LBB8_667:                              ;   in Loop: Header=BB8_668 Depth=2
	s_or_b32 exec_lo, exec_lo, s59
	s_and_b32 s58, exec_lo, s60
	s_or_b32 s46, s58, s46
	s_andn2_b32 s47, s47, exec_lo
	s_and_b32 s58, s56, exec_lo
	s_or_b32 s47, s47, s58
	s_andn2_b32 exec_lo, exec_lo, s46
	s_cbranch_execz .LBB8_691
.LBB8_668:                              ;   Parent Loop BB8_77 Depth=1
                                        ; =>  This Inner Loop Header: Depth=2
	s_add_i32 s57, s57, 1
	s_cmpk_lg_i32 s57, 0x2710
	s_cselect_b32 s58, -1, 0
	s_and_b32 vcc_lo, exec_lo, s58
	s_cbranch_vccz .LBB8_670
; %bb.669:                              ;   in Loop: Header=BB8_668 Depth=2
	s_mov_b32 s60, -1
	s_or_b32 s56, s56, exec_lo
	s_and_saveexec_b32 s59, s58
	s_cbranch_execz .LBB8_667
	s_branch .LBB8_671
	.p2align	6
.LBB8_670:                              ;   in Loop: Header=BB8_668 Depth=2
	s_trap 2
	ds_read_b64 v[2:3], v0
	s_andn2_b32 s58, s58, exec_lo
	s_mov_b32 s57, 0
	s_waitcnt lgkmcnt(0)
	flat_load_dword v2, v[2:3] glc dlc
	s_waitcnt vmcnt(0) lgkmcnt(0)
	buffer_gl1_inv
	buffer_gl0_inv
	v_cmp_eq_u32_e32 vcc_lo, 0, v2
	s_and_b32 s59, vcc_lo, exec_lo
	s_or_b32 s58, s58, s59
	s_mov_b32 s60, -1
	s_or_b32 s56, s56, exec_lo
	s_and_saveexec_b32 s59, s58
	s_cbranch_execz .LBB8_667
.LBB8_671:                              ;   in Loop: Header=BB8_668 Depth=2
	s_sleep 1
	s_trap 2
	ds_read_b64 v[2:3], v0
	s_waitcnt lgkmcnt(0)
	buffer_gl0_inv
	s_andn2_b32 s56, s56, exec_lo
	v_cmp_ge_u64_e32 vcc_lo, v[2:3], v[24:25]
	s_orn2_b32 s60, vcc_lo, exec_lo
	s_branch .LBB8_667
.LBB8_672:                              ;   in Loop: Header=BB8_77 Depth=1
	s_inst_prefetch 0x2
	s_or_b32 exec_lo, exec_lo, s47
	s_and_saveexec_b32 s47, s56
	s_xor_b32 s47, exec_lo, s47
	s_cbranch_execz .LBB8_674
; %bb.673:                              ;   in Loop: Header=BB8_77 Depth=1
	ds_write_b32 v0, v66
	s_trap 2
.LBB8_674:                              ;   in Loop: Header=BB8_77 Depth=1
	s_or_b32 exec_lo, exec_lo, s46
	;;#ASMSTART
	s_wakeup
	;;#ASMEND
.LBB8_675:                              ;   in Loop: Header=BB8_77 Depth=1
	s_or_b32 exec_lo, exec_lo, s45
.LBB8_676:                              ;   in Loop: Header=BB8_77 Depth=1
	s_andn2_saveexec_b32 s19, s19
	s_cbranch_execz .LBB8_678
; %bb.677:                              ;   in Loop: Header=BB8_77 Depth=1
	s_waitcnt vmcnt(0) lgkmcnt(0)
	s_waitcnt_vscnt null, 0x0
	buffer_gl1_inv
	buffer_gl0_inv
	s_barrier
.LBB8_678:                              ;   in Loop: Header=BB8_77 Depth=1
	s_or_b32 exec_lo, exec_lo, s19
.LBB8_679:                              ;   in Loop: Header=BB8_77 Depth=1
	s_or_b32 exec_lo, exec_lo, s18
	s_trap 2
	ds_read_b32 v12, v0
	v_and_b32_e32 v2, 0x4000, v52
	v_cmp_ne_u32_e32 vcc_lo, 0, v2
	s_and_b32 s19, s42, vcc_lo
	s_and_saveexec_b32 s18, s19
	s_cbranch_execz .LBB8_751
; %bb.680:                              ;   in Loop: Header=BB8_77 Depth=1
	s_and_saveexec_b32 s19, s27
	s_xor_b32 s19, exec_lo, s19
	s_cbranch_execz .LBB8_748
; %bb.681:                              ;   in Loop: Header=BB8_77 Depth=1
	s_and_saveexec_b32 s45, s12
	s_cbranch_execz .LBB8_747
; %bb.682:                              ;   in Loop: Header=BB8_77 Depth=1
	s_mov_b32 s47, exec_lo
	s_mov_b32 s46, exec_lo
	v_mbcnt_lo_u32_b32 v2, s47, 0
	s_waitcnt vmcnt(0) lgkmcnt(0)
	s_waitcnt_vscnt null, 0x0
	buffer_gl1_inv
	buffer_gl0_inv
	v_cmpx_eq_u32_e32 0, v2
	s_cbranch_execz .LBB8_684
; %bb.683:                              ;   in Loop: Header=BB8_77 Depth=1
	s_bcnt1_i32_b32 s47, s47
	v_mov_b32_e32 v3, v1
	v_mov_b32_e32 v2, s47
	ds_add_u64 v0, v[2:3]
	s_trap 2
.LBB8_684:                              ;   in Loop: Header=BB8_77 Depth=1
	s_or_b32 exec_lo, exec_lo, s46
	s_trap 2
	ds_read_b64 v[2:3], v0
	s_waitcnt lgkmcnt(0)
	buffer_gl0_inv
	v_add_co_u32 v24, vcc_lo, v24, v55
	v_add_co_ci_u32_e64 v25, null, 0, v25, vcc_lo
	s_mov_b32 s46, exec_lo
	v_cmpx_lt_u64_e64 v[2:3], v[24:25]
	s_cbranch_execz .LBB8_746
; %bb.685:                              ;   in Loop: Header=BB8_77 Depth=1
	s_mov_b32 s47, 0
	s_mov_b32 s58, 0
                                        ; implicit-def: $sgpr56
                                        ; implicit-def: $sgpr57
	s_inst_prefetch 0x1
	s_branch .LBB8_687
	.p2align	6
.LBB8_686:                              ;   in Loop: Header=BB8_687 Depth=2
	s_or_b32 exec_lo, exec_lo, s60
	s_and_b32 s59, exec_lo, s61
	s_or_b32 s47, s59, s47
	s_andn2_b32 s56, s56, exec_lo
	s_and_b32 s59, s57, exec_lo
	s_or_b32 s56, s56, s59
	s_andn2_b32 exec_lo, exec_lo, s47
	s_cbranch_execz .LBB8_744
.LBB8_687:                              ;   Parent Loop BB8_77 Depth=1
                                        ; =>  This Inner Loop Header: Depth=2
	s_add_i32 s58, s58, 1
	s_cmpk_lg_i32 s58, 0x2710
	s_cselect_b32 s59, -1, 0
	s_and_b32 vcc_lo, exec_lo, s59
	s_cbranch_vccz .LBB8_689
; %bb.688:                              ;   in Loop: Header=BB8_687 Depth=2
	s_mov_b32 s61, -1
	s_or_b32 s57, s57, exec_lo
	s_and_saveexec_b32 s60, s59
	s_cbranch_execz .LBB8_686
	s_branch .LBB8_690
	.p2align	6
.LBB8_689:                              ;   in Loop: Header=BB8_687 Depth=2
	s_trap 2
	ds_read_b64 v[2:3], v0
	s_andn2_b32 s59, s59, exec_lo
	s_mov_b32 s58, 0
	s_waitcnt lgkmcnt(0)
	flat_load_dword v2, v[2:3] glc dlc
	s_waitcnt vmcnt(0) lgkmcnt(0)
	buffer_gl1_inv
	buffer_gl0_inv
	v_cmp_eq_u32_e32 vcc_lo, 0, v2
	s_and_b32 s60, vcc_lo, exec_lo
	s_or_b32 s59, s59, s60
	s_mov_b32 s61, -1
	s_or_b32 s57, s57, exec_lo
	s_and_saveexec_b32 s60, s59
	s_cbranch_execz .LBB8_686
.LBB8_690:                              ;   in Loop: Header=BB8_687 Depth=2
	s_sleep 1
	s_trap 2
	ds_read_b64 v[2:3], v0
	s_waitcnt lgkmcnt(0)
	buffer_gl0_inv
	s_andn2_b32 s57, s57, exec_lo
	v_cmp_ge_u64_e32 vcc_lo, v[2:3], v[24:25]
	s_orn2_b32 s61, vcc_lo, exec_lo
	s_branch .LBB8_686
.LBB8_691:                              ;   in Loop: Header=BB8_77 Depth=1
	s_inst_prefetch 0x2
	s_or_b32 exec_lo, exec_lo, s46
	s_and_saveexec_b32 s46, s47
	s_xor_b32 s46, exec_lo, s46
	s_cbranch_execz .LBB8_693
; %bb.692:                              ;   in Loop: Header=BB8_77 Depth=1
	ds_write_b32 v0, v66
	s_trap 2
.LBB8_693:                              ;   in Loop: Header=BB8_77 Depth=1
	s_or_b32 exec_lo, exec_lo, s45
	;;#ASMSTART
	s_wakeup
	;;#ASMEND
.LBB8_694:                              ;   in Loop: Header=BB8_77 Depth=1
	s_or_b32 exec_lo, exec_lo, s43
.LBB8_695:                              ;   in Loop: Header=BB8_77 Depth=1
	s_andn2_saveexec_b32 s20, s20
	s_cbranch_execz .LBB8_697
; %bb.696:                              ;   in Loop: Header=BB8_77 Depth=1
	s_waitcnt vmcnt(0) lgkmcnt(0)
	s_waitcnt_vscnt null, 0x0
	buffer_gl1_inv
	buffer_gl0_inv
	s_barrier
.LBB8_697:                              ;   in Loop: Header=BB8_77 Depth=1
	s_or_b32 exec_lo, exec_lo, s20
.LBB8_698:                              ;   in Loop: Header=BB8_77 Depth=1
	s_or_b32 exec_lo, exec_lo, s19
	s_trap 2
	ds_read_b64 v[2:3], v0
	v_min_i32_e32 v36, v36, v101
	s_waitcnt lgkmcnt(0)
	v_cmp_eq_u64_e32 vcc_lo, 0, v[2:3]
	s_cbranch_vccnz .LBB8_732
; %bb.699:                              ;   in Loop: Header=BB8_77 Depth=1
	s_trap 2
	ds_read_b64 v[10:11], v0
	s_waitcnt lgkmcnt(0)
	v_cmp_eq_u64_e32 vcc_lo, 0, v[10:11]
	s_cbranch_vccnz .LBB8_732
; %bb.700:                              ;   in Loop: Header=BB8_77 Depth=1
	s_mov_b32 s19, -1
	s_and_saveexec_b32 s20, s13
	s_cbranch_execz .LBB8_702
; %bb.701:                              ;   in Loop: Header=BB8_77 Depth=1
	ds_read_b32 v13, v0 offset:720
	s_waitcnt lgkmcnt(0)
	v_and_b32_e32 v13, 15, v13
	v_cmp_eq_u32_e32 vcc_lo, 0, v13
	s_orn2_b32 s19, vcc_lo, exec_lo
.LBB8_702:                              ;   in Loop: Header=BB8_77 Depth=1
	s_or_b32 exec_lo, exec_lo, s20
	s_and_saveexec_b32 s20, s16
	s_cbranch_execz .LBB8_704
; %bb.703:                              ;   in Loop: Header=BB8_77 Depth=1
	ds_read_b32 v13, v0 offset:784
	s_waitcnt lgkmcnt(0)
	v_and_b32_e32 v13, 15, v13
	v_cmp_eq_u32_e32 vcc_lo, 0, v13
	s_and_b32 s43, s19, vcc_lo
	s_andn2_b32 s19, s19, exec_lo
	s_and_b32 s43, s43, exec_lo
	s_or_b32 s19, s19, s43
.LBB8_704:                              ;   in Loop: Header=BB8_77 Depth=1
	s_or_b32 exec_lo, exec_lo, s20
	v_cmp_eq_u32_e32 vcc_lo, 0, v12
	s_xor_b32 s19, s19, -1
	v_mov_b32_e32 v12, 0
	v_cndmask_b32_e64 v13, 0, 1, s19
	v_mov_b32_e32 v37, v0
	v_cndmask_b32_e32 v48, 0, v36, vcc_lo
	v_mov_b32_e32 v103, v81
	s_mov_b32 s19, -1
	v_cmp_ne_u32_e32 vcc_lo, 0, v13
	v_mov_b32_e32 v13, v48
	s_cbranch_vccnz .LBB8_718
; %bb.705:                              ;   in Loop: Header=BB8_77 Depth=1
	v_ashrrev_i32_e32 v12, 31, v48
	s_mov_b32 s20, exec_lo
	v_lshrrev_b32_e32 v12, 21, v12
	v_add_nc_u32_e32 v12, v48, v12
	v_ashrrev_i32_e32 v50, 11, v12
	v_sub_nc_u32_e32 v49, v50, v81
	v_cmpx_lt_i32_e32 0, v49
	s_cbranch_execz .LBB8_709
; %bb.706:                              ;   in Loop: Header=BB8_77 Depth=1
	v_mov_b32_e32 v13, v11
	v_mov_b32_e32 v38, v3
	;; [unrolled: 1-line block ×4, first 2 shown]
	s_mov_b32 s43, 0
	s_inst_prefetch 0x1
	.p2align	6
.LBB8_707:                              ;   Parent Loop BB8_77 Depth=1
                                        ; =>  This Inner Loop Header: Depth=2
	v_add_co_u32 v102, vcc_lo, v98, v37
	v_add_co_ci_u32_e64 v103, null, v100, v38, vcc_lo
	v_sub_nc_u32_e32 v49, v49, v55
	s_clause 0x3
	global_load_dwordx4 v[112:115], v[102:103], off slc
	global_load_dwordx4 v[116:119], v[102:103], off offset:512 slc
	global_load_dwordx4 v[40:43], v[102:103], off offset:1024 slc
	;; [unrolled: 1-line block ×3, first 2 shown]
	v_add_co_u32 v102, vcc_lo, v98, v12
	v_add_co_ci_u32_e64 v103, null, v100, v13, vcc_lo
	v_add_co_u32 v37, vcc_lo, v37, v71
	v_add_co_ci_u32_e64 v38, null, 0, v38, vcc_lo
	v_add_co_u32 v12, vcc_lo, v12, v71
	v_cmp_gt_i32_e64 s19, 1, v49
	v_add_co_ci_u32_e64 v13, null, 0, v13, vcc_lo
	s_waitcnt vmcnt(3)
	global_store_dwordx4 v[102:103], v[112:115], off glc slc
	s_waitcnt vmcnt(2)
	global_store_dwordx4 v[102:103], v[116:119], off offset:512 glc slc
	s_waitcnt vmcnt(1)
	global_store_dwordx4 v[102:103], v[40:43], off offset:1024 glc slc
	s_waitcnt vmcnt(0)
	global_store_dwordx4 v[102:103], v[44:47], off offset:1536 glc slc
	s_or_b32 s43, s19, s43
	s_andn2_b32 exec_lo, exec_lo, s43
	s_cbranch_execnz .LBB8_707
; %bb.708:                              ;   in Loop: Header=BB8_77 Depth=1
	s_inst_prefetch 0x2
	s_or_b32 exec_lo, exec_lo, s43
.LBB8_709:                              ;   in Loop: Header=BB8_77 Depth=1
	s_or_b32 exec_lo, exec_lo, s20
	v_lshlrev_b32_e32 v38, 11, v50
	v_mov_b32_e32 v12, 0
	s_mov_b32 s19, 0
	s_mov_b32 s43, exec_lo
                                        ; implicit-def: $vgpr13
                                        ; implicit-def: $vgpr37
                                        ; implicit-def: $vgpr103
	v_cmpx_ne_u32_e64 v48, v38
	s_cbranch_execz .LBB8_717
; %bb.710:                              ;   in Loop: Header=BB8_77 Depth=1
	v_lshlrev_b32_e32 v12, 5, v49
	v_sub_nc_u32_e32 v37, v48, v38
	s_mov_b32 s45, exec_lo
	v_sub_nc_u32_e32 v12, v84, v12
	v_ashrrev_i32_e32 v49, 31, v37
	v_ashrrev_i32_e32 v13, 31, v12
	v_lshrrev_b32_e32 v49, 23, v49
	v_lshrrev_b32_e32 v13, 27, v13
	v_add_nc_u32_e32 v102, v37, v49
	v_add_nc_u32_e32 v13, v12, v13
	v_and_b32_e32 v49, 0xfffffe00, v102
	v_ashrrev_i32_e32 v102, 9, v102
	v_and_b32_e32 v50, 0xffffffe0, v13
	v_sub_nc_u32_e32 v51, v37, v49
	v_ashrrev_i32_e32 v103, 5, v13
	v_sub_nc_u32_e32 v50, v12, v50
	v_cmp_lt_i32_e32 vcc_lo, 15, v51
	v_lshlrev_b32_e32 v12, 4, v50
	v_add_co_ci_u32_e64 v102, null, 0, v102, vcc_lo
	v_lshl_add_u32 v13, v103, 9, v12
	v_sub_nc_u32_e32 v102, v102, v103
	v_sub_nc_u32_e32 v12, v37, v13
	v_cmpx_lt_i32_e32 15, v12
	s_cbranch_execz .LBB8_714
; %bb.711:                              ;   in Loop: Header=BB8_77 Depth=1
	v_add_nc_u32_e32 v13, v13, v38
	s_mov_b32 s46, 0
	v_ashrrev_i32_e32 v37, 31, v13
	.p2align	6
.LBB8_712:                              ;   Parent Loop BB8_77 Depth=1
                                        ; =>  This Inner Loop Header: Depth=2
	v_add_co_u32 v112, s19, v2, v13
	v_add_co_ci_u32_e64 v113, null, v3, v37, s19
	v_sub_nc_u32_e32 v12, v12, v68
	v_add_co_u32 v116, s19, v10, v13
	global_load_dwordx4 v[112:115], v[112:113], off slc
	v_add_co_ci_u32_e64 v117, null, v11, v37, s19
	v_cmp_gt_i32_e64 s19, 16, v12
	v_add_co_u32 v13, s20, v13, v96
	v_sub_nc_u32_e32 v102, v102, v55
	v_add_co_ci_u32_e64 v37, null, v37, v97, s20
	s_or_b32 s46, s19, s46
	s_waitcnt vmcnt(0)
	global_store_dwordx4 v[116:117], v[112:115], off glc slc
	s_andn2_b32 exec_lo, exec_lo, s46
	s_cbranch_execnz .LBB8_712
; %bb.713:                              ;   in Loop: Header=BB8_77 Depth=1
	s_or_b32 exec_lo, exec_lo, s46
.LBB8_714:                              ;   in Loop: Header=BB8_77 Depth=1
	s_or_b32 exec_lo, exec_lo, s45
	v_and_b32_e32 v112, 15, v48
	v_mov_b32_e32 v12, 0
	s_mov_b32 s20, 0
	s_mov_b32 s45, exec_lo
                                        ; implicit-def: $vgpr37
                                        ; implicit-def: $vgpr103
	v_cndmask_b32_e32 v13, v51, v112, vcc_lo
	v_cmpx_ne_u32_e32 0, v13
	s_cbranch_execz .LBB8_716
; %bb.715:                              ;   in Loop: Header=BB8_77 Depth=1
	v_cmp_lt_i32_e64 s19, 0, v102
	s_mov_b32 s20, exec_lo
	v_cndmask_b32_e64 v12, 0, v55, s19
	v_sub_nc_u32_e32 v12, v12, v102
	v_lshl_add_u32 v37, v12, 5, v50
	v_sub_nc_u32_e32 v50, v51, v112
	v_ashrrev_i32_e32 v12, 31, v37
	v_cndmask_b32_e32 v50, 0, v50, vcc_lo
	v_lshrrev_b32_e32 v12, 27, v12
	v_add_nc_u32_e32 v51, v37, v12
	v_add3_u32 v12, v49, v38, v50
	v_ashrrev_i32_e32 v103, 5, v51
.LBB8_716:                              ;   in Loop: Header=BB8_77 Depth=1
	s_or_b32 exec_lo, exec_lo, s45
	s_and_b32 s19, s20, exec_lo
.LBB8_717:                              ;   in Loop: Header=BB8_77 Depth=1
	s_or_b32 exec_lo, exec_lo, s43
.LBB8_718:                              ;   in Loop: Header=BB8_77 Depth=1
	s_and_saveexec_b32 s20, s19
	s_cbranch_execz .LBB8_727
; %bb.719:                              ;   in Loop: Header=BB8_77 Depth=1
	v_ashrrev_i32_e32 v38, 31, v13
	v_ashrrev_i32_e32 v49, 31, v37
	s_mov_b32 s19, exec_lo
	v_lshrrev_b32_e32 v38, 23, v38
	v_lshrrev_b32_e32 v49, 27, v49
	v_add_nc_u32_e32 v38, v13, v38
	v_ashrrev_i32_e32 v50, 9, v38
	v_sub_nc_u32_e32 v38, v50, v103
	v_cmpx_lt_i32_e32 0, v38
	s_cbranch_execz .LBB8_723
; %bb.720:                              ;   in Loop: Header=BB8_77 Depth=1
	v_add_nc_u32_e32 v51, v37, v49
	v_lshlrev_b32_e32 v102, 9, v103
	s_mov_b32 s43, 0
	v_and_b32_e32 v51, 0xffffffe0, v51
	v_sub_nc_u32_e32 v51, v37, v51
	v_add3_u32 v51, v12, v51, v102
	v_ashrrev_i32_e32 v102, 31, v51
.LBB8_721:                              ;   Parent Loop BB8_77 Depth=1
                                        ; =>  This Inner Loop Header: Depth=2
	v_add_co_u32 v112, vcc_lo, v51, v2
	v_add_co_ci_u32_e64 v113, null, v102, v3, vcc_lo
	v_sub_nc_u32_e32 v38, v38, v55
	s_clause 0xf
	flat_load_ubyte v103, v[112:113] slc
	flat_load_ubyte v114, v[112:113] offset:32 slc
	flat_load_ubyte v115, v[112:113] offset:64 slc
	;; [unrolled: 1-line block ×15, first 2 shown]
	v_add_co_u32 v112, vcc_lo, v51, v10
	v_add_co_ci_u32_e64 v113, null, v102, v11, vcc_lo
	v_add_co_u32 v2, vcc_lo, v2, v96
	v_add_co_ci_u32_e64 v3, null, v3, v97, vcc_lo
	;; [unrolled: 2-line block ×3, first 2 shown]
	v_cmp_gt_i32_e32 vcc_lo, 1, v38
	s_waitcnt vmcnt(15) lgkmcnt(15)
	flat_store_byte v[112:113], v103 glc slc
	s_waitcnt vmcnt(14) lgkmcnt(15)
	flat_store_byte v[112:113], v114 offset:32 glc slc
	s_waitcnt vmcnt(13) lgkmcnt(15)
	flat_store_byte v[112:113], v115 offset:64 glc slc
	;; [unrolled: 2-line block ×15, first 2 shown]
	s_or_b32 s43, vcc_lo, s43
	s_andn2_b32 exec_lo, exec_lo, s43
	s_cbranch_execnz .LBB8_721
; %bb.722:                              ;   in Loop: Header=BB8_77 Depth=1
	s_or_b32 exec_lo, exec_lo, s43
.LBB8_723:                              ;   in Loop: Header=BB8_77 Depth=1
	s_or_b32 exec_lo, exec_lo, s19
	v_lshlrev_b32_e32 v2, 9, v50
	v_cmp_ne_u32_e32 vcc_lo, v13, v2
	s_and_b32 exec_lo, exec_lo, vcc_lo
	s_cbranch_execz .LBB8_727
; %bb.724:                              ;   in Loop: Header=BB8_77 Depth=1
	v_add_nc_u32_e32 v3, v37, v49
	v_lshlrev_b32_e32 v10, 5, v38
	v_and_b32_e32 v3, 0xffffffe0, v3
	v_sub_nc_u32_e32 v3, v37, v3
	v_sub_nc_u32_e32 v3, v3, v10
	v_add_nc_u32_e32 v11, v2, v3
	v_sub_nc_u32_e32 v10, v13, v11
	v_cmp_lt_i32_e32 vcc_lo, 0, v10
	s_and_b32 exec_lo, exec_lo, vcc_lo
	s_cbranch_execz .LBB8_727
; %bb.725:                              ;   in Loop: Header=BB8_77 Depth=1
	s_trap 2
	ds_read_b64 v[2:3], v0
	v_add_nc_u32_e32 v11, v11, v12
	s_mov_b32 s43, 0
	v_ashrrev_i32_e32 v12, 31, v11
	.p2align	6
.LBB8_726:                              ;   Parent Loop BB8_77 Depth=1
                                        ; =>  This Inner Loop Header: Depth=2
	s_waitcnt lgkmcnt(0)
	v_add_co_u32 v37, vcc_lo, v2, v11
	v_add_co_ci_u32_e64 v38, null, v3, v12, vcc_lo
	v_sub_nc_u32_e32 v10, v10, v64
	v_add_co_u32 v11, s19, v11, v85
	flat_load_ubyte v13, v[37:38] slc
	v_add_co_ci_u32_e64 v12, null, v12, v86, s19
	v_cmp_gt_i32_e32 vcc_lo, 1, v10
	s_or_b32 s43, vcc_lo, s43
	s_waitcnt vmcnt(0) lgkmcnt(0)
	flat_store_byte v[37:38], v13 glc slc
	s_andn2_b32 exec_lo, exec_lo, s43
	s_cbranch_execnz .LBB8_726
.LBB8_727:                              ;   in Loop: Header=BB8_77 Depth=1
	s_or_b32 exec_lo, exec_lo, s20
	v_cmp_lt_i32_e64 s19, 0, v48
	s_and_saveexec_b32 s20, s7
	s_cbranch_execnz .LBB8_733
.LBB8_728:                              ;   in Loop: Header=BB8_77 Depth=1
	s_or_b32 exec_lo, exec_lo, s20
	s_and_saveexec_b32 s20, s15
	s_xor_b32 s20, exec_lo, s20
	s_cbranch_execz .LBB8_804
.LBB8_729:                              ;   in Loop: Header=BB8_77 Depth=1
	v_and_b32_e32 v2, 16, v52
	v_cmp_ne_u32_e32 vcc_lo, 0, v2
	s_and_b32 s43, vcc_lo, s19
	s_and_saveexec_b32 s19, s43
	s_cbranch_execz .LBB8_731
; %bb.730:                              ;   in Loop: Header=BB8_77 Depth=1
	s_waitcnt vmcnt(0) lgkmcnt(0)
	s_waitcnt_vscnt null, 0x0
	buffer_gl1_inv
	buffer_gl0_inv
.LBB8_731:                              ;   in Loop: Header=BB8_77 Depth=1
	s_or_b32 exec_lo, exec_lo, s19
	s_andn2_saveexec_b32 s19, s20
	s_cbranch_execz .LBB8_842
	s_branch .LBB8_805
.LBB8_732:                              ;   in Loop: Header=BB8_77 Depth=1
	s_mov_b32 s19, 0
	s_and_saveexec_b32 s20, s7
	s_cbranch_execz .LBB8_728
.LBB8_733:                              ;   in Loop: Header=BB8_77 Depth=1
	s_and_saveexec_b32 s43, s27
	s_xor_b32 s43, exec_lo, s43
	s_cbranch_execz .LBB8_801
; %bb.734:                              ;   in Loop: Header=BB8_77 Depth=1
	s_and_saveexec_b32 s45, s12
	s_cbranch_execz .LBB8_800
; %bb.735:                              ;   in Loop: Header=BB8_77 Depth=1
	s_mov_b32 s47, exec_lo
	s_mov_b32 s46, exec_lo
	v_mbcnt_lo_u32_b32 v2, s47, 0
	s_waitcnt vmcnt(0) lgkmcnt(0)
	s_waitcnt_vscnt null, 0x0
	buffer_gl1_inv
	buffer_gl0_inv
	v_cmpx_eq_u32_e32 0, v2
	s_cbranch_execz .LBB8_737
; %bb.736:                              ;   in Loop: Header=BB8_77 Depth=1
	s_bcnt1_i32_b32 s47, s47
	v_mov_b32_e32 v3, v1
	v_mov_b32_e32 v2, s47
	ds_add_u64 v0, v[2:3]
	s_trap 2
.LBB8_737:                              ;   in Loop: Header=BB8_77 Depth=1
	s_or_b32 exec_lo, exec_lo, s46
	s_trap 2
	ds_read_b64 v[2:3], v0
	s_waitcnt lgkmcnt(0)
	buffer_gl0_inv
	v_add_co_u32 v24, vcc_lo, v24, v55
	v_add_co_ci_u32_e64 v25, null, 0, v25, vcc_lo
	s_mov_b32 s46, exec_lo
	v_cmpx_lt_u64_e64 v[2:3], v[24:25]
	s_cbranch_execz .LBB8_799
; %bb.738:                              ;   in Loop: Header=BB8_77 Depth=1
	s_mov_b32 s47, 0
	s_mov_b32 s58, 0
                                        ; implicit-def: $sgpr56
                                        ; implicit-def: $sgpr57
	s_inst_prefetch 0x1
	s_branch .LBB8_740
	.p2align	6
.LBB8_739:                              ;   in Loop: Header=BB8_740 Depth=2
	s_or_b32 exec_lo, exec_lo, s60
	s_and_b32 s59, exec_lo, s61
	s_or_b32 s47, s59, s47
	s_andn2_b32 s56, s56, exec_lo
	s_and_b32 s59, s57, exec_lo
	s_or_b32 s56, s56, s59
	s_andn2_b32 exec_lo, exec_lo, s47
	s_cbranch_execz .LBB8_797
.LBB8_740:                              ;   Parent Loop BB8_77 Depth=1
                                        ; =>  This Inner Loop Header: Depth=2
	s_add_i32 s58, s58, 1
	s_cmpk_lg_i32 s58, 0x2710
	s_cselect_b32 s59, -1, 0
	s_and_b32 vcc_lo, exec_lo, s59
	s_cbranch_vccz .LBB8_742
; %bb.741:                              ;   in Loop: Header=BB8_740 Depth=2
	s_mov_b32 s61, -1
	s_or_b32 s57, s57, exec_lo
	s_and_saveexec_b32 s60, s59
	s_cbranch_execz .LBB8_739
	s_branch .LBB8_743
	.p2align	6
.LBB8_742:                              ;   in Loop: Header=BB8_740 Depth=2
	s_trap 2
	ds_read_b64 v[2:3], v0
	s_andn2_b32 s59, s59, exec_lo
	s_mov_b32 s58, 0
	s_waitcnt lgkmcnt(0)
	flat_load_dword v2, v[2:3] glc dlc
	s_waitcnt vmcnt(0) lgkmcnt(0)
	buffer_gl1_inv
	buffer_gl0_inv
	v_cmp_eq_u32_e32 vcc_lo, 0, v2
	s_and_b32 s60, vcc_lo, exec_lo
	s_or_b32 s59, s59, s60
	s_mov_b32 s61, -1
	s_or_b32 s57, s57, exec_lo
	s_and_saveexec_b32 s60, s59
	s_cbranch_execz .LBB8_739
.LBB8_743:                              ;   in Loop: Header=BB8_740 Depth=2
	s_sleep 1
	s_trap 2
	ds_read_b64 v[2:3], v0
	s_waitcnt lgkmcnt(0)
	buffer_gl0_inv
	s_andn2_b32 s57, s57, exec_lo
	v_cmp_ge_u64_e32 vcc_lo, v[2:3], v[24:25]
	s_orn2_b32 s61, vcc_lo, exec_lo
	s_branch .LBB8_739
.LBB8_744:                              ;   in Loop: Header=BB8_77 Depth=1
	s_inst_prefetch 0x2
	s_or_b32 exec_lo, exec_lo, s47
	s_and_saveexec_b32 s47, s56
	s_xor_b32 s47, exec_lo, s47
	s_cbranch_execz .LBB8_746
; %bb.745:                              ;   in Loop: Header=BB8_77 Depth=1
	ds_write_b32 v0, v66
	s_trap 2
.LBB8_746:                              ;   in Loop: Header=BB8_77 Depth=1
	s_or_b32 exec_lo, exec_lo, s46
	;;#ASMSTART
	s_wakeup
	;;#ASMEND
.LBB8_747:                              ;   in Loop: Header=BB8_77 Depth=1
	s_or_b32 exec_lo, exec_lo, s45
.LBB8_748:                              ;   in Loop: Header=BB8_77 Depth=1
	s_andn2_saveexec_b32 s19, s19
	s_cbranch_execz .LBB8_750
; %bb.749:                              ;   in Loop: Header=BB8_77 Depth=1
	s_waitcnt vmcnt(0) lgkmcnt(0)
	s_waitcnt_vscnt null, 0x0
	buffer_gl1_inv
	buffer_gl0_inv
	s_barrier
.LBB8_750:                              ;   in Loop: Header=BB8_77 Depth=1
	s_or_b32 exec_lo, exec_lo, s19
.LBB8_751:                              ;   in Loop: Header=BB8_77 Depth=1
	s_or_b32 exec_lo, exec_lo, s18
	s_trap 2
	ds_read_b64 v[2:3], v0
	s_waitcnt lgkmcnt(0)
	v_cmp_eq_u64_e32 vcc_lo, 0, v[2:3]
	s_cbranch_vccnz .LBB8_785
; %bb.752:                              ;   in Loop: Header=BB8_77 Depth=1
	s_trap 2
	ds_read_b64 v[10:11], v0
	s_waitcnt lgkmcnt(0)
	v_cmp_eq_u64_e32 vcc_lo, 0, v[10:11]
	s_cbranch_vccnz .LBB8_785
; %bb.753:                              ;   in Loop: Header=BB8_77 Depth=1
	s_mov_b32 s18, -1
	s_and_saveexec_b32 s19, s16
	s_cbranch_execz .LBB8_755
; %bb.754:                              ;   in Loop: Header=BB8_77 Depth=1
	ds_read_b32 v13, v0 offset:720
	s_waitcnt lgkmcnt(0)
	v_and_b32_e32 v13, 15, v13
	v_cmp_eq_u32_e32 vcc_lo, 0, v13
	s_orn2_b32 s18, vcc_lo, exec_lo
.LBB8_755:                              ;   in Loop: Header=BB8_77 Depth=1
	s_or_b32 exec_lo, exec_lo, s19
	s_and_saveexec_b32 s19, s13
	s_cbranch_execz .LBB8_757
; %bb.756:                              ;   in Loop: Header=BB8_77 Depth=1
	ds_read_b32 v13, v0 offset:784
	s_waitcnt lgkmcnt(0)
	v_and_b32_e32 v13, 15, v13
	v_cmp_eq_u32_e32 vcc_lo, 0, v13
	s_and_b32 s45, s18, vcc_lo
	s_andn2_b32 s18, s18, exec_lo
	s_and_b32 s45, s45, exec_lo
	s_or_b32 s18, s18, s45
.LBB8_757:                              ;   in Loop: Header=BB8_77 Depth=1
	s_or_b32 exec_lo, exec_lo, s19
	v_cmp_eq_u32_e32 vcc_lo, 0, v12
	s_xor_b32 s18, s18, -1
	v_mov_b32_e32 v12, 0
	v_cndmask_b32_e64 v13, 0, 1, s18
	v_mov_b32_e32 v37, v0
	v_cndmask_b32_e32 v48, 0, v36, vcc_lo
	v_mov_b32_e32 v103, v81
	s_mov_b32 s18, -1
	v_cmp_ne_u32_e32 vcc_lo, 0, v13
	v_mov_b32_e32 v13, v48
	s_cbranch_vccnz .LBB8_771
; %bb.758:                              ;   in Loop: Header=BB8_77 Depth=1
	v_ashrrev_i32_e32 v12, 31, v48
	s_mov_b32 s19, exec_lo
	v_lshrrev_b32_e32 v12, 21, v12
	v_add_nc_u32_e32 v12, v48, v12
	v_ashrrev_i32_e32 v50, 11, v12
	v_sub_nc_u32_e32 v49, v50, v81
	v_cmpx_lt_i32_e32 0, v49
	s_cbranch_execz .LBB8_762
; %bb.759:                              ;   in Loop: Header=BB8_77 Depth=1
	v_mov_b32_e32 v13, v11
	v_mov_b32_e32 v38, v3
	v_mov_b32_e32 v12, v10
	v_mov_b32_e32 v37, v2
	s_mov_b32 s45, 0
	s_inst_prefetch 0x1
	.p2align	6
.LBB8_760:                              ;   Parent Loop BB8_77 Depth=1
                                        ; =>  This Inner Loop Header: Depth=2
	v_add_co_u32 v102, vcc_lo, v98, v37
	v_add_co_ci_u32_e64 v103, null, v100, v38, vcc_lo
	v_sub_nc_u32_e32 v49, v49, v55
	s_clause 0x3
	global_load_dwordx4 v[112:115], v[102:103], off slc
	global_load_dwordx4 v[116:119], v[102:103], off offset:512 slc
	global_load_dwordx4 v[40:43], v[102:103], off offset:1024 slc
	;; [unrolled: 1-line block ×3, first 2 shown]
	v_add_co_u32 v102, vcc_lo, v98, v12
	v_add_co_ci_u32_e64 v103, null, v100, v13, vcc_lo
	v_add_co_u32 v37, vcc_lo, v37, v71
	v_add_co_ci_u32_e64 v38, null, 0, v38, vcc_lo
	v_add_co_u32 v12, vcc_lo, v12, v71
	v_cmp_gt_i32_e64 s18, 1, v49
	v_add_co_ci_u32_e64 v13, null, 0, v13, vcc_lo
	s_waitcnt vmcnt(3)
	global_store_dwordx4 v[102:103], v[112:115], off glc slc
	s_waitcnt vmcnt(2)
	global_store_dwordx4 v[102:103], v[116:119], off offset:512 glc slc
	s_waitcnt vmcnt(1)
	global_store_dwordx4 v[102:103], v[40:43], off offset:1024 glc slc
	;; [unrolled: 2-line block ×3, first 2 shown]
	s_or_b32 s45, s18, s45
	s_andn2_b32 exec_lo, exec_lo, s45
	s_cbranch_execnz .LBB8_760
; %bb.761:                              ;   in Loop: Header=BB8_77 Depth=1
	s_inst_prefetch 0x2
	s_or_b32 exec_lo, exec_lo, s45
.LBB8_762:                              ;   in Loop: Header=BB8_77 Depth=1
	s_or_b32 exec_lo, exec_lo, s19
	v_lshlrev_b32_e32 v38, 11, v50
	v_mov_b32_e32 v12, 0
	s_mov_b32 s18, 0
	s_mov_b32 s45, exec_lo
                                        ; implicit-def: $vgpr13
                                        ; implicit-def: $vgpr37
                                        ; implicit-def: $vgpr103
	v_cmpx_ne_u32_e64 v48, v38
	s_cbranch_execz .LBB8_770
; %bb.763:                              ;   in Loop: Header=BB8_77 Depth=1
	v_lshlrev_b32_e32 v12, 5, v49
	v_sub_nc_u32_e32 v37, v48, v38
	s_mov_b32 s46, exec_lo
	v_sub_nc_u32_e32 v12, v84, v12
	v_ashrrev_i32_e32 v49, 31, v37
	v_ashrrev_i32_e32 v13, 31, v12
	v_lshrrev_b32_e32 v49, 23, v49
	v_lshrrev_b32_e32 v13, 27, v13
	v_add_nc_u32_e32 v102, v37, v49
	v_add_nc_u32_e32 v13, v12, v13
	v_and_b32_e32 v49, 0xfffffe00, v102
	v_ashrrev_i32_e32 v102, 9, v102
	v_and_b32_e32 v50, 0xffffffe0, v13
	v_sub_nc_u32_e32 v51, v37, v49
	v_ashrrev_i32_e32 v103, 5, v13
	v_sub_nc_u32_e32 v50, v12, v50
	v_cmp_lt_i32_e32 vcc_lo, 15, v51
	v_lshlrev_b32_e32 v12, 4, v50
	v_add_co_ci_u32_e64 v102, null, 0, v102, vcc_lo
	v_lshl_add_u32 v13, v103, 9, v12
	v_sub_nc_u32_e32 v102, v102, v103
	v_sub_nc_u32_e32 v12, v37, v13
	v_cmpx_lt_i32_e32 15, v12
	s_cbranch_execz .LBB8_767
; %bb.764:                              ;   in Loop: Header=BB8_77 Depth=1
	v_add_nc_u32_e32 v13, v13, v38
	s_mov_b32 s47, 0
	v_ashrrev_i32_e32 v37, 31, v13
	.p2align	6
.LBB8_765:                              ;   Parent Loop BB8_77 Depth=1
                                        ; =>  This Inner Loop Header: Depth=2
	v_add_co_u32 v112, s18, v2, v13
	v_add_co_ci_u32_e64 v113, null, v3, v37, s18
	v_sub_nc_u32_e32 v12, v12, v68
	v_add_co_u32 v116, s18, v10, v13
	global_load_dwordx4 v[112:115], v[112:113], off slc
	v_add_co_ci_u32_e64 v117, null, v11, v37, s18
	v_cmp_gt_i32_e64 s18, 16, v12
	v_add_co_u32 v13, s19, v13, v96
	v_sub_nc_u32_e32 v102, v102, v55
	v_add_co_ci_u32_e64 v37, null, v37, v97, s19
	s_or_b32 s47, s18, s47
	s_waitcnt vmcnt(0)
	global_store_dwordx4 v[116:117], v[112:115], off glc slc
	s_andn2_b32 exec_lo, exec_lo, s47
	s_cbranch_execnz .LBB8_765
; %bb.766:                              ;   in Loop: Header=BB8_77 Depth=1
	s_or_b32 exec_lo, exec_lo, s47
.LBB8_767:                              ;   in Loop: Header=BB8_77 Depth=1
	s_or_b32 exec_lo, exec_lo, s46
	v_and_b32_e32 v112, 15, v48
	v_mov_b32_e32 v12, 0
	s_mov_b32 s19, 0
	s_mov_b32 s46, exec_lo
                                        ; implicit-def: $vgpr37
                                        ; implicit-def: $vgpr103
	v_cndmask_b32_e32 v13, v51, v112, vcc_lo
	v_cmpx_ne_u32_e32 0, v13
	s_cbranch_execz .LBB8_769
; %bb.768:                              ;   in Loop: Header=BB8_77 Depth=1
	v_cmp_lt_i32_e64 s18, 0, v102
	s_mov_b32 s19, exec_lo
	v_cndmask_b32_e64 v12, 0, v55, s18
	v_sub_nc_u32_e32 v12, v12, v102
	v_lshl_add_u32 v37, v12, 5, v50
	v_sub_nc_u32_e32 v50, v51, v112
	v_ashrrev_i32_e32 v12, 31, v37
	v_cndmask_b32_e32 v50, 0, v50, vcc_lo
	v_lshrrev_b32_e32 v12, 27, v12
	v_add_nc_u32_e32 v51, v37, v12
	v_add3_u32 v12, v49, v38, v50
	v_ashrrev_i32_e32 v103, 5, v51
.LBB8_769:                              ;   in Loop: Header=BB8_77 Depth=1
	s_or_b32 exec_lo, exec_lo, s46
	s_and_b32 s18, s19, exec_lo
.LBB8_770:                              ;   in Loop: Header=BB8_77 Depth=1
	s_or_b32 exec_lo, exec_lo, s45
.LBB8_771:                              ;   in Loop: Header=BB8_77 Depth=1
	s_and_saveexec_b32 s19, s18
	s_cbranch_execz .LBB8_780
; %bb.772:                              ;   in Loop: Header=BB8_77 Depth=1
	v_ashrrev_i32_e32 v38, 31, v13
	v_ashrrev_i32_e32 v49, 31, v37
	s_mov_b32 s18, exec_lo
	v_lshrrev_b32_e32 v38, 23, v38
	v_lshrrev_b32_e32 v49, 27, v49
	v_add_nc_u32_e32 v38, v13, v38
	v_ashrrev_i32_e32 v50, 9, v38
	v_sub_nc_u32_e32 v38, v50, v103
	v_cmpx_lt_i32_e32 0, v38
	s_cbranch_execz .LBB8_776
; %bb.773:                              ;   in Loop: Header=BB8_77 Depth=1
	v_add_nc_u32_e32 v51, v37, v49
	v_lshlrev_b32_e32 v102, 9, v103
	s_mov_b32 s45, 0
	v_and_b32_e32 v51, 0xffffffe0, v51
	v_sub_nc_u32_e32 v51, v37, v51
	v_add3_u32 v51, v12, v51, v102
	v_ashrrev_i32_e32 v102, 31, v51
.LBB8_774:                              ;   Parent Loop BB8_77 Depth=1
                                        ; =>  This Inner Loop Header: Depth=2
	v_add_co_u32 v112, vcc_lo, v51, v2
	v_add_co_ci_u32_e64 v113, null, v102, v3, vcc_lo
	v_sub_nc_u32_e32 v38, v38, v55
	s_clause 0xf
	flat_load_ubyte v103, v[112:113] slc
	flat_load_ubyte v114, v[112:113] offset:32 slc
	flat_load_ubyte v115, v[112:113] offset:64 slc
	flat_load_ubyte v116, v[112:113] offset:96 slc
	flat_load_ubyte v117, v[112:113] offset:128 slc
	flat_load_ubyte v118, v[112:113] offset:160 slc
	flat_load_ubyte v119, v[112:113] offset:192 slc
	flat_load_ubyte v40, v[112:113] offset:224 slc
	flat_load_ubyte v41, v[112:113] offset:256 slc
	flat_load_ubyte v42, v[112:113] offset:288 slc
	flat_load_ubyte v43, v[112:113] offset:320 slc
	flat_load_ubyte v44, v[112:113] offset:352 slc
	flat_load_ubyte v45, v[112:113] offset:384 slc
	flat_load_ubyte v46, v[112:113] offset:416 slc
	flat_load_ubyte v47, v[112:113] offset:448 slc
	flat_load_ubyte v56, v[112:113] offset:480 slc
	v_add_co_u32 v112, vcc_lo, v51, v10
	v_add_co_ci_u32_e64 v113, null, v102, v11, vcc_lo
	v_add_co_u32 v2, vcc_lo, v2, v96
	v_add_co_ci_u32_e64 v3, null, v3, v97, vcc_lo
	v_add_co_u32 v10, vcc_lo, v10, v96
	v_add_co_ci_u32_e64 v11, null, v11, v97, vcc_lo
	v_cmp_gt_i32_e32 vcc_lo, 1, v38
	s_waitcnt vmcnt(15) lgkmcnt(15)
	flat_store_byte v[112:113], v103 glc slc
	s_waitcnt vmcnt(14) lgkmcnt(15)
	flat_store_byte v[112:113], v114 offset:32 glc slc
	s_waitcnt vmcnt(13) lgkmcnt(15)
	flat_store_byte v[112:113], v115 offset:64 glc slc
	;; [unrolled: 2-line block ×15, first 2 shown]
	s_or_b32 s45, vcc_lo, s45
	s_andn2_b32 exec_lo, exec_lo, s45
	s_cbranch_execnz .LBB8_774
; %bb.775:                              ;   in Loop: Header=BB8_77 Depth=1
	s_or_b32 exec_lo, exec_lo, s45
.LBB8_776:                              ;   in Loop: Header=BB8_77 Depth=1
	s_or_b32 exec_lo, exec_lo, s18
	v_lshlrev_b32_e32 v2, 9, v50
	v_cmp_ne_u32_e32 vcc_lo, v13, v2
	s_and_b32 exec_lo, exec_lo, vcc_lo
	s_cbranch_execz .LBB8_780
; %bb.777:                              ;   in Loop: Header=BB8_77 Depth=1
	v_add_nc_u32_e32 v3, v37, v49
	v_lshlrev_b32_e32 v10, 5, v38
	v_and_b32_e32 v3, 0xffffffe0, v3
	v_sub_nc_u32_e32 v3, v37, v3
	v_sub_nc_u32_e32 v3, v3, v10
	v_add_nc_u32_e32 v11, v2, v3
	v_sub_nc_u32_e32 v10, v13, v11
	v_cmp_lt_i32_e32 vcc_lo, 0, v10
	s_and_b32 exec_lo, exec_lo, vcc_lo
	s_cbranch_execz .LBB8_780
; %bb.778:                              ;   in Loop: Header=BB8_77 Depth=1
	s_trap 2
	ds_read_b64 v[2:3], v0
	v_add_nc_u32_e32 v11, v11, v12
	s_mov_b32 s45, 0
	v_ashrrev_i32_e32 v12, 31, v11
	.p2align	6
.LBB8_779:                              ;   Parent Loop BB8_77 Depth=1
                                        ; =>  This Inner Loop Header: Depth=2
	s_waitcnt lgkmcnt(0)
	v_add_co_u32 v37, vcc_lo, v2, v11
	v_add_co_ci_u32_e64 v38, null, v3, v12, vcc_lo
	v_sub_nc_u32_e32 v10, v10, v64
	v_add_co_u32 v11, s18, v11, v85
	flat_load_ubyte v13, v[37:38] slc
	v_add_co_ci_u32_e64 v12, null, v12, v86, s18
	v_cmp_gt_i32_e32 vcc_lo, 1, v10
	s_or_b32 s45, vcc_lo, s45
	s_waitcnt vmcnt(0) lgkmcnt(0)
	flat_store_byte v[37:38], v13 glc slc
	s_andn2_b32 exec_lo, exec_lo, s45
	s_cbranch_execnz .LBB8_779
.LBB8_780:                              ;   in Loop: Header=BB8_77 Depth=1
	s_or_b32 exec_lo, exec_lo, s19
	v_cmp_lt_i32_e64 s18, 0, v48
	s_and_saveexec_b32 s19, s7
	s_cbranch_execnz .LBB8_786
.LBB8_781:                              ;   in Loop: Header=BB8_77 Depth=1
	s_or_b32 exec_lo, exec_lo, s19
                                        ; implicit-def: $vgpr2
	s_and_saveexec_b32 s19, s15
	s_xor_b32 s19, exec_lo, s19
	s_cbranch_execz .LBB8_823
.LBB8_782:                              ;   in Loop: Header=BB8_77 Depth=1
	v_and_b32_e32 v2, 16, v52
	v_cmp_ne_u32_e32 vcc_lo, 0, v2
	v_and_b32_e32 v2, 16, v52
	s_and_b32 s45, vcc_lo, s18
	s_and_saveexec_b32 s18, s45
	s_cbranch_execz .LBB8_784
; %bb.783:                              ;   in Loop: Header=BB8_77 Depth=1
	v_mov_b32_e32 v2, 1
	s_waitcnt vmcnt(0) lgkmcnt(0)
	s_waitcnt_vscnt null, 0x0
	buffer_gl1_inv
	buffer_gl0_inv
.LBB8_784:                              ;   in Loop: Header=BB8_77 Depth=1
	s_or_b32 exec_lo, exec_lo, s18
	s_andn2_saveexec_b32 s18, s19
	s_cbranch_execz .LBB8_891
	s_branch .LBB8_824
.LBB8_785:                              ;   in Loop: Header=BB8_77 Depth=1
	s_mov_b32 s18, 0
	s_and_saveexec_b32 s19, s7
	s_cbranch_execz .LBB8_781
.LBB8_786:                              ;   in Loop: Header=BB8_77 Depth=1
	s_and_saveexec_b32 s45, s27
	s_xor_b32 s45, exec_lo, s45
	s_cbranch_execz .LBB8_820
; %bb.787:                              ;   in Loop: Header=BB8_77 Depth=1
	s_and_saveexec_b32 s46, s12
	s_cbranch_execz .LBB8_819
; %bb.788:                              ;   in Loop: Header=BB8_77 Depth=1
	s_mov_b32 s56, exec_lo
	s_mov_b32 s47, exec_lo
	v_mbcnt_lo_u32_b32 v2, s56, 0
	s_waitcnt vmcnt(0) lgkmcnt(0)
	s_waitcnt_vscnt null, 0x0
	buffer_gl1_inv
	buffer_gl0_inv
	v_cmpx_eq_u32_e32 0, v2
	s_cbranch_execz .LBB8_790
; %bb.789:                              ;   in Loop: Header=BB8_77 Depth=1
	s_bcnt1_i32_b32 s56, s56
	v_mov_b32_e32 v3, v1
	v_mov_b32_e32 v2, s56
	ds_add_u64 v0, v[2:3]
	s_trap 2
.LBB8_790:                              ;   in Loop: Header=BB8_77 Depth=1
	s_or_b32 exec_lo, exec_lo, s47
	s_trap 2
	ds_read_b64 v[2:3], v0
	s_waitcnt lgkmcnt(0)
	buffer_gl0_inv
	v_add_co_u32 v24, vcc_lo, v24, v55
	v_add_co_ci_u32_e64 v25, null, 0, v25, vcc_lo
	s_mov_b32 s47, exec_lo
	v_cmpx_lt_u64_e64 v[2:3], v[24:25]
	s_cbranch_execz .LBB8_818
; %bb.791:                              ;   in Loop: Header=BB8_77 Depth=1
	s_mov_b32 s56, 0
	s_mov_b32 s59, 0
                                        ; implicit-def: $sgpr57
                                        ; implicit-def: $sgpr58
	s_inst_prefetch 0x1
	s_branch .LBB8_793
	.p2align	6
.LBB8_792:                              ;   in Loop: Header=BB8_793 Depth=2
	s_or_b32 exec_lo, exec_lo, s61
	s_and_b32 s60, exec_lo, s62
	s_or_b32 s56, s60, s56
	s_andn2_b32 s57, s57, exec_lo
	s_and_b32 s60, s58, exec_lo
	s_or_b32 s57, s57, s60
	s_andn2_b32 exec_lo, exec_lo, s56
	s_cbranch_execz .LBB8_816
.LBB8_793:                              ;   Parent Loop BB8_77 Depth=1
                                        ; =>  This Inner Loop Header: Depth=2
	s_add_i32 s59, s59, 1
	s_cmpk_lg_i32 s59, 0x2710
	s_cselect_b32 s60, -1, 0
	s_and_b32 vcc_lo, exec_lo, s60
	s_cbranch_vccz .LBB8_795
; %bb.794:                              ;   in Loop: Header=BB8_793 Depth=2
	s_mov_b32 s62, -1
	s_or_b32 s58, s58, exec_lo
	s_and_saveexec_b32 s61, s60
	s_cbranch_execz .LBB8_792
	s_branch .LBB8_796
	.p2align	6
.LBB8_795:                              ;   in Loop: Header=BB8_793 Depth=2
	s_trap 2
	ds_read_b64 v[2:3], v0
	s_andn2_b32 s60, s60, exec_lo
	s_mov_b32 s59, 0
	s_waitcnt lgkmcnt(0)
	flat_load_dword v2, v[2:3] glc dlc
	s_waitcnt vmcnt(0) lgkmcnt(0)
	buffer_gl1_inv
	buffer_gl0_inv
	v_cmp_eq_u32_e32 vcc_lo, 0, v2
	s_and_b32 s61, vcc_lo, exec_lo
	s_or_b32 s60, s60, s61
	s_mov_b32 s62, -1
	s_or_b32 s58, s58, exec_lo
	s_and_saveexec_b32 s61, s60
	s_cbranch_execz .LBB8_792
.LBB8_796:                              ;   in Loop: Header=BB8_793 Depth=2
	s_sleep 1
	s_trap 2
	ds_read_b64 v[2:3], v0
	s_waitcnt lgkmcnt(0)
	buffer_gl0_inv
	s_andn2_b32 s58, s58, exec_lo
	v_cmp_ge_u64_e32 vcc_lo, v[2:3], v[24:25]
	s_orn2_b32 s62, vcc_lo, exec_lo
	s_branch .LBB8_792
.LBB8_797:                              ;   in Loop: Header=BB8_77 Depth=1
	s_inst_prefetch 0x2
	s_or_b32 exec_lo, exec_lo, s47
	s_and_saveexec_b32 s47, s56
	s_xor_b32 s47, exec_lo, s47
	s_cbranch_execz .LBB8_799
; %bb.798:                              ;   in Loop: Header=BB8_77 Depth=1
	ds_write_b32 v0, v66
	s_trap 2
.LBB8_799:                              ;   in Loop: Header=BB8_77 Depth=1
	s_or_b32 exec_lo, exec_lo, s46
	;;#ASMSTART
	s_wakeup
	;;#ASMEND
.LBB8_800:                              ;   in Loop: Header=BB8_77 Depth=1
	s_or_b32 exec_lo, exec_lo, s45
.LBB8_801:                              ;   in Loop: Header=BB8_77 Depth=1
	s_andn2_saveexec_b32 s43, s43
	s_cbranch_execz .LBB8_803
; %bb.802:                              ;   in Loop: Header=BB8_77 Depth=1
	s_waitcnt vmcnt(0) lgkmcnt(0)
	s_waitcnt_vscnt null, 0x0
	buffer_gl1_inv
	buffer_gl0_inv
	s_barrier
.LBB8_803:                              ;   in Loop: Header=BB8_77 Depth=1
	s_or_b32 exec_lo, exec_lo, s43
	s_or_b32 exec_lo, exec_lo, s20
	s_and_saveexec_b32 s20, s15
	s_xor_b32 s20, exec_lo, s20
	s_cbranch_execnz .LBB8_729
.LBB8_804:                              ;   in Loop: Header=BB8_77 Depth=1
	s_andn2_saveexec_b32 s19, s20
	s_cbranch_execz .LBB8_842
.LBB8_805:                              ;   in Loop: Header=BB8_77 Depth=1
	s_and_saveexec_b32 s20, s27
	s_xor_b32 s20, exec_lo, s20
	s_cbranch_execz .LBB8_839
; %bb.806:                              ;   in Loop: Header=BB8_77 Depth=1
	s_and_saveexec_b32 s43, s12
	s_cbranch_execz .LBB8_838
; %bb.807:                              ;   in Loop: Header=BB8_77 Depth=1
	s_mov_b32 s46, exec_lo
	s_mov_b32 s45, exec_lo
	v_mbcnt_lo_u32_b32 v2, s46, 0
	;;#ASMSTART
	s_waitcnt lgkmcnt(0) vmcnt(0)
	;;#ASMEND
	v_cmpx_eq_u32_e32 0, v2
	s_cbranch_execz .LBB8_809
; %bb.808:                              ;   in Loop: Header=BB8_77 Depth=1
	s_bcnt1_i32_b32 s46, s46
	v_mov_b32_e32 v3, v1
	v_mov_b32_e32 v2, s46
	s_waitcnt vmcnt(0) lgkmcnt(0)
	s_waitcnt_vscnt null, 0x0
	ds_add_u64 v0, v[2:3]
	s_trap 2
.LBB8_809:                              ;   in Loop: Header=BB8_77 Depth=1
	s_or_b32 exec_lo, exec_lo, s45
	s_trap 2
	ds_read_b64 v[2:3], v0
	s_waitcnt vmcnt(0) lgkmcnt(0)
	buffer_gl0_inv
	v_add_co_u32 v24, vcc_lo, v24, v55
	v_add_co_ci_u32_e64 v25, null, 0, v25, vcc_lo
	s_mov_b32 s45, exec_lo
	v_cmpx_lt_u64_e64 v[2:3], v[24:25]
	s_cbranch_execz .LBB8_837
; %bb.810:                              ;   in Loop: Header=BB8_77 Depth=1
	s_mov_b32 s46, 0
	s_mov_b32 s57, 0
                                        ; implicit-def: $sgpr47
                                        ; implicit-def: $sgpr56
	s_inst_prefetch 0x1
	s_branch .LBB8_812
	.p2align	6
.LBB8_811:                              ;   in Loop: Header=BB8_812 Depth=2
	s_or_b32 exec_lo, exec_lo, s59
	s_and_b32 s58, exec_lo, s60
	s_or_b32 s46, s58, s46
	s_andn2_b32 s47, s47, exec_lo
	s_and_b32 s58, s56, exec_lo
	s_or_b32 s47, s47, s58
	s_andn2_b32 exec_lo, exec_lo, s46
	s_cbranch_execz .LBB8_835
.LBB8_812:                              ;   Parent Loop BB8_77 Depth=1
                                        ; =>  This Inner Loop Header: Depth=2
	s_add_i32 s57, s57, 1
	s_cmpk_lg_i32 s57, 0x2710
	s_cselect_b32 s58, -1, 0
	s_and_b32 vcc_lo, exec_lo, s58
	s_cbranch_vccz .LBB8_814
; %bb.813:                              ;   in Loop: Header=BB8_812 Depth=2
	s_mov_b32 s60, -1
	s_or_b32 s56, s56, exec_lo
	s_and_saveexec_b32 s59, s58
	s_cbranch_execz .LBB8_811
	s_branch .LBB8_815
	.p2align	6
.LBB8_814:                              ;   in Loop: Header=BB8_812 Depth=2
	s_trap 2
	ds_read_b64 v[2:3], v0
	s_andn2_b32 s58, s58, exec_lo
	s_mov_b32 s57, 0
	s_waitcnt lgkmcnt(0)
	s_waitcnt_vscnt null, 0x0
	flat_load_dword v2, v[2:3] glc dlc
	s_waitcnt vmcnt(0) lgkmcnt(0)
	buffer_gl1_inv
	buffer_gl0_inv
	v_cmp_eq_u32_e32 vcc_lo, 0, v2
	s_and_b32 s59, vcc_lo, exec_lo
	s_or_b32 s58, s58, s59
	s_mov_b32 s60, -1
	s_or_b32 s56, s56, exec_lo
	s_and_saveexec_b32 s59, s58
	s_cbranch_execz .LBB8_811
.LBB8_815:                              ;   in Loop: Header=BB8_812 Depth=2
	s_sleep 1
	s_trap 2
	ds_read_b64 v[2:3], v0
	s_waitcnt lgkmcnt(0)
	buffer_gl0_inv
	s_andn2_b32 s56, s56, exec_lo
	v_cmp_ge_u64_e32 vcc_lo, v[2:3], v[24:25]
	s_orn2_b32 s60, vcc_lo, exec_lo
	s_branch .LBB8_811
.LBB8_816:                              ;   in Loop: Header=BB8_77 Depth=1
	s_inst_prefetch 0x2
	s_or_b32 exec_lo, exec_lo, s56
	s_and_saveexec_b32 s56, s57
	s_xor_b32 s56, exec_lo, s56
	s_cbranch_execz .LBB8_818
; %bb.817:                              ;   in Loop: Header=BB8_77 Depth=1
	ds_write_b32 v0, v66
	s_trap 2
.LBB8_818:                              ;   in Loop: Header=BB8_77 Depth=1
	s_or_b32 exec_lo, exec_lo, s47
	;;#ASMSTART
	s_wakeup
	;;#ASMEND
.LBB8_819:                              ;   in Loop: Header=BB8_77 Depth=1
	s_or_b32 exec_lo, exec_lo, s46
.LBB8_820:                              ;   in Loop: Header=BB8_77 Depth=1
	s_andn2_saveexec_b32 s45, s45
	s_cbranch_execz .LBB8_822
; %bb.821:                              ;   in Loop: Header=BB8_77 Depth=1
	s_waitcnt vmcnt(0) lgkmcnt(0)
	s_waitcnt_vscnt null, 0x0
	buffer_gl1_inv
	buffer_gl0_inv
	s_barrier
.LBB8_822:                              ;   in Loop: Header=BB8_77 Depth=1
	s_or_b32 exec_lo, exec_lo, s45
	s_or_b32 exec_lo, exec_lo, s19
                                        ; implicit-def: $vgpr2
	s_and_saveexec_b32 s19, s15
	s_xor_b32 s19, exec_lo, s19
	s_cbranch_execnz .LBB8_782
.LBB8_823:                              ;   in Loop: Header=BB8_77 Depth=1
	s_andn2_saveexec_b32 s18, s19
	s_cbranch_execz .LBB8_891
.LBB8_824:                              ;   in Loop: Header=BB8_77 Depth=1
	s_and_saveexec_b32 s19, s27
	s_xor_b32 s19, exec_lo, s19
	s_cbranch_execz .LBB8_888
; %bb.825:                              ;   in Loop: Header=BB8_77 Depth=1
	s_and_saveexec_b32 s45, s12
	s_cbranch_execz .LBB8_887
; %bb.826:                              ;   in Loop: Header=BB8_77 Depth=1
	s_mov_b32 s47, exec_lo
	s_mov_b32 s46, exec_lo
	v_mbcnt_lo_u32_b32 v2, s47, 0
	;;#ASMSTART
	s_waitcnt lgkmcnt(0) vmcnt(0)
	;;#ASMEND
	v_cmpx_eq_u32_e32 0, v2
	s_cbranch_execz .LBB8_828
; %bb.827:                              ;   in Loop: Header=BB8_77 Depth=1
	s_bcnt1_i32_b32 s47, s47
	v_mov_b32_e32 v3, v1
	v_mov_b32_e32 v2, s47
	s_waitcnt vmcnt(0) lgkmcnt(0)
	s_waitcnt_vscnt null, 0x0
	ds_add_u64 v0, v[2:3]
	s_trap 2
.LBB8_828:                              ;   in Loop: Header=BB8_77 Depth=1
	s_or_b32 exec_lo, exec_lo, s46
	s_trap 2
	ds_read_b64 v[2:3], v0
	s_waitcnt vmcnt(0) lgkmcnt(0)
	buffer_gl0_inv
	v_add_co_u32 v24, vcc_lo, v24, v55
	v_add_co_ci_u32_e64 v25, null, 0, v25, vcc_lo
	s_mov_b32 s46, exec_lo
	v_cmpx_lt_u64_e64 v[2:3], v[24:25]
	s_cbranch_execz .LBB8_886
; %bb.829:                              ;   in Loop: Header=BB8_77 Depth=1
	s_mov_b32 s47, 0
	s_mov_b32 s58, 0
                                        ; implicit-def: $sgpr56
                                        ; implicit-def: $sgpr57
	s_inst_prefetch 0x1
	s_branch .LBB8_831
	.p2align	6
.LBB8_830:                              ;   in Loop: Header=BB8_831 Depth=2
	s_or_b32 exec_lo, exec_lo, s60
	s_and_b32 s59, exec_lo, s61
	s_or_b32 s47, s59, s47
	s_andn2_b32 s56, s56, exec_lo
	s_and_b32 s59, s57, exec_lo
	s_or_b32 s56, s56, s59
	s_andn2_b32 exec_lo, exec_lo, s47
	s_cbranch_execz .LBB8_884
.LBB8_831:                              ;   Parent Loop BB8_77 Depth=1
                                        ; =>  This Inner Loop Header: Depth=2
	s_add_i32 s58, s58, 1
	s_cmpk_lg_i32 s58, 0x2710
	s_cselect_b32 s59, -1, 0
	s_and_b32 vcc_lo, exec_lo, s59
	s_cbranch_vccz .LBB8_833
; %bb.832:                              ;   in Loop: Header=BB8_831 Depth=2
	s_mov_b32 s61, -1
	s_or_b32 s57, s57, exec_lo
	s_and_saveexec_b32 s60, s59
	s_cbranch_execz .LBB8_830
	s_branch .LBB8_834
	.p2align	6
.LBB8_833:                              ;   in Loop: Header=BB8_831 Depth=2
	s_trap 2
	ds_read_b64 v[2:3], v0
	s_andn2_b32 s59, s59, exec_lo
	s_mov_b32 s58, 0
	s_waitcnt lgkmcnt(0)
	s_waitcnt_vscnt null, 0x0
	flat_load_dword v2, v[2:3] glc dlc
	s_waitcnt vmcnt(0) lgkmcnt(0)
	buffer_gl1_inv
	buffer_gl0_inv
	v_cmp_eq_u32_e32 vcc_lo, 0, v2
	s_and_b32 s60, vcc_lo, exec_lo
	s_or_b32 s59, s59, s60
	s_mov_b32 s61, -1
	s_or_b32 s57, s57, exec_lo
	s_and_saveexec_b32 s60, s59
	s_cbranch_execz .LBB8_830
.LBB8_834:                              ;   in Loop: Header=BB8_831 Depth=2
	s_sleep 1
	s_trap 2
	ds_read_b64 v[2:3], v0
	s_waitcnt lgkmcnt(0)
	buffer_gl0_inv
	s_andn2_b32 s57, s57, exec_lo
	v_cmp_ge_u64_e32 vcc_lo, v[2:3], v[24:25]
	s_orn2_b32 s61, vcc_lo, exec_lo
	s_branch .LBB8_830
.LBB8_835:                              ;   in Loop: Header=BB8_77 Depth=1
	s_inst_prefetch 0x2
	s_or_b32 exec_lo, exec_lo, s46
	s_and_saveexec_b32 s46, s47
	s_xor_b32 s46, exec_lo, s46
	s_cbranch_execz .LBB8_837
; %bb.836:                              ;   in Loop: Header=BB8_77 Depth=1
	ds_write_b32 v0, v66
	s_trap 2
.LBB8_837:                              ;   in Loop: Header=BB8_77 Depth=1
	s_or_b32 exec_lo, exec_lo, s45
	;;#ASMSTART
	s_wakeup
	;;#ASMEND
.LBB8_838:                              ;   in Loop: Header=BB8_77 Depth=1
	s_or_b32 exec_lo, exec_lo, s43
.LBB8_839:                              ;   in Loop: Header=BB8_77 Depth=1
	s_andn2_saveexec_b32 s20, s20
	s_cbranch_execz .LBB8_841
; %bb.840:                              ;   in Loop: Header=BB8_77 Depth=1
	;;#ASMSTART
	s_waitcnt lgkmcnt(0) vmcnt(0)
	;;#ASMEND
	s_barrier
.LBB8_841:                              ;   in Loop: Header=BB8_77 Depth=1
	s_or_b32 exec_lo, exec_lo, s20
.LBB8_842:                              ;   in Loop: Header=BB8_77 Depth=1
	s_or_b32 exec_lo, exec_lo, s19
	v_and_b32_e32 v2, 32, v52
	s_mov_b32 s19, exec_lo
	v_cmpx_ne_u32_e32 0, v2
	s_cbranch_execz .LBB8_844
; %bb.843:                              ;   in Loop: Header=BB8_77 Depth=1
	v_add_co_u32 v8, vcc_lo, v8, 1
	v_add_co_ci_u32_e64 v9, null, 0, v9, vcc_lo
	s_waitcnt vmcnt(0) lgkmcnt(0)
	s_waitcnt_vscnt null, 0x0
	flat_store_dwordx2 v[20:21], v[8:9]
.LBB8_844:                              ;   in Loop: Header=BB8_77 Depth=1
	s_or_b32 exec_lo, exec_lo, s19
	v_mov_b32_e32 v12, v36
.LBB8_845:                              ;   in Loop: Header=BB8_77 Depth=1
	s_or_b32 exec_lo, exec_lo, s23
	s_mov_b32 s19, s21
	s_and_saveexec_b32 s20, s17
	s_cbranch_execz .LBB8_995
; %bb.846:                              ;   in Loop: Header=BB8_77 Depth=1
	v_and_b32_e32 v2, 4, v52
	s_mov_b32 s23, exec_lo
	v_cmpx_ne_u32_e32 0, v2
	s_cbranch_execz .LBB8_856
; %bb.847:                              ;   in Loop: Header=BB8_77 Depth=1
	v_add_co_u32 v2, vcc_lo, v8, 1
	v_add_co_ci_u32_e64 v3, null, 0, v9, vcc_lo
	s_mov_b32 s43, exec_lo
	s_waitcnt vmcnt(0) lgkmcnt(1)
	v_cmpx_lt_u64_e64 v[28:29], v[2:3]
	s_cbranch_execz .LBB8_871
; %bb.848:                              ;   in Loop: Header=BB8_77 Depth=1
	v_and_b32_e32 v9, 64, v52
	s_mov_b32 s45, 0
	s_mov_b32 s57, 0
                                        ; implicit-def: $sgpr46
                                        ; implicit-def: $sgpr47
                                        ; implicit-def: $sgpr56
	v_cmp_eq_u32_e32 vcc_lo, 0, v9
	s_branch .LBB8_852
.LBB8_849:                              ;   in Loop: Header=BB8_852 Depth=2
	s_waitcnt vmcnt(0) lgkmcnt(0)
	v_cmp_ge_u64_e64 s19, v[28:29], v[2:3]
	s_or_b32 s60, s60, exec_lo
	s_orn2_b32 s59, s19, exec_lo
.LBB8_850:                              ;   in Loop: Header=BB8_852 Depth=2
	s_or_b32 exec_lo, exec_lo, s62
	s_andn2_b32 s19, s56, exec_lo
	s_and_b32 s56, s60, exec_lo
	s_andn2_b32 s47, s47, exec_lo
	s_and_b32 s59, s59, exec_lo
	s_or_b32 s56, s19, s56
	s_or_b32 s47, s47, s59
.LBB8_851:                              ;   in Loop: Header=BB8_852 Depth=2
	s_or_b32 exec_lo, exec_lo, s58
	s_and_b32 s19, exec_lo, s47
	s_or_b32 s45, s19, s45
	s_andn2_b32 s19, s46, exec_lo
	s_and_b32 s46, s56, exec_lo
	s_or_b32 s46, s19, s46
	s_andn2_b32 exec_lo, exec_lo, s45
	s_cbranch_execz .LBB8_868
.LBB8_852:                              ;   Parent Loop BB8_77 Depth=1
                                        ; =>  This Inner Loop Header: Depth=2
	s_sleep 1
	s_waitcnt vmcnt(0) lgkmcnt(0)
	flat_load_dwordx2 v[28:29], v[20:21] glc dlc
	s_or_b32 s56, s56, exec_lo
	s_or_b32 s47, s47, exec_lo
                                        ; implicit-def: $vgpr9
	s_and_saveexec_b32 s58, vcc_lo
	s_cbranch_execz .LBB8_851
; %bb.853:                              ;   in Loop: Header=BB8_852 Depth=2
	s_cmpk_lt_i32 s57, 0x270f
	s_mov_b32 s59, -1
	s_cselect_b32 s61, -1, 0
	s_cmpk_gt_i32 s57, 0x270e
	s_cbranch_scc0 .LBB8_855
; %bb.854:                              ;   in Loop: Header=BB8_852 Depth=2
	s_trap 2
	ds_read_b64 v[9:10], v0
	s_andn2_b32 s57, s61, exec_lo
	s_mov_b32 s60, 0
	s_waitcnt vmcnt(0) lgkmcnt(0)
	s_waitcnt_vscnt null, 0x0
	flat_load_dword v9, v[9:10] glc dlc
	s_waitcnt vmcnt(0) lgkmcnt(0)
	buffer_gl1_inv
	buffer_gl0_inv
	v_cmp_eq_u32_e64 s19, 0, v9
	s_and_b32 s19, s19, exec_lo
	s_or_b32 s61, s57, s19
	s_mov_b32 s57, 0
	s_and_saveexec_b32 s62, s61
	s_cbranch_execz .LBB8_850
	s_branch .LBB8_849
.LBB8_855:                              ;   in Loop: Header=BB8_852 Depth=2
	s_add_i32 s57, s57, 1
	s_mov_b32 s60, -1
                                        ; implicit-def: $vgpr9
	s_and_saveexec_b32 s62, s61
	s_cbranch_execz .LBB8_850
	s_branch .LBB8_849
.LBB8_856:                              ;   in Loop: Header=BB8_77 Depth=1
	s_or_b32 exec_lo, exec_lo, s23
	s_and_saveexec_b32 s19, s7
	s_cbranch_execz .LBB8_880
.LBB8_857:                              ;   in Loop: Header=BB8_77 Depth=1
	s_and_saveexec_b32 s23, s27
	s_xor_b32 s23, exec_lo, s23
	s_cbranch_execz .LBB8_947
; %bb.858:                              ;   in Loop: Header=BB8_77 Depth=1
	s_and_saveexec_b32 s43, s12
	s_cbranch_execz .LBB8_946
; %bb.859:                              ;   in Loop: Header=BB8_77 Depth=1
	s_mov_b32 s46, exec_lo
	s_mov_b32 s45, exec_lo
	v_mbcnt_lo_u32_b32 v2, s46, 0
	s_waitcnt vmcnt(0) lgkmcnt(0)
	s_waitcnt_vscnt null, 0x0
	buffer_gl1_inv
	buffer_gl0_inv
	v_cmpx_eq_u32_e32 0, v2
	s_cbranch_execz .LBB8_861
; %bb.860:                              ;   in Loop: Header=BB8_77 Depth=1
	s_bcnt1_i32_b32 s46, s46
	v_mov_b32_e32 v3, v1
	v_mov_b32_e32 v2, s46
	ds_add_u64 v0, v[2:3]
	s_trap 2
.LBB8_861:                              ;   in Loop: Header=BB8_77 Depth=1
	s_or_b32 exec_lo, exec_lo, s45
	s_trap 2
	ds_read_b64 v[2:3], v0
	s_waitcnt lgkmcnt(0)
	buffer_gl0_inv
	v_add_co_u32 v24, vcc_lo, v24, v55
	v_add_co_ci_u32_e64 v25, null, 0, v25, vcc_lo
	s_mov_b32 s45, exec_lo
	v_cmpx_lt_u64_e64 v[2:3], v[24:25]
	s_cbranch_execz .LBB8_945
; %bb.862:                              ;   in Loop: Header=BB8_77 Depth=1
	s_mov_b32 s46, 0
	s_mov_b32 s57, 0
                                        ; implicit-def: $sgpr47
                                        ; implicit-def: $sgpr56
	s_inst_prefetch 0x1
	s_branch .LBB8_864
	.p2align	6
.LBB8_863:                              ;   in Loop: Header=BB8_864 Depth=2
	s_or_b32 exec_lo, exec_lo, s59
	s_and_b32 s58, exec_lo, s60
	s_or_b32 s46, s58, s46
	s_andn2_b32 s47, s47, exec_lo
	s_and_b32 s58, s56, exec_lo
	s_or_b32 s47, s47, s58
	s_andn2_b32 exec_lo, exec_lo, s46
	s_cbranch_execz .LBB8_943
.LBB8_864:                              ;   Parent Loop BB8_77 Depth=1
                                        ; =>  This Inner Loop Header: Depth=2
	s_add_i32 s57, s57, 1
	s_cmpk_lg_i32 s57, 0x2710
	s_cselect_b32 s58, -1, 0
	s_and_b32 vcc_lo, exec_lo, s58
	s_cbranch_vccz .LBB8_866
; %bb.865:                              ;   in Loop: Header=BB8_864 Depth=2
	s_mov_b32 s60, -1
	s_or_b32 s56, s56, exec_lo
	s_and_saveexec_b32 s59, s58
	s_cbranch_execz .LBB8_863
	s_branch .LBB8_867
	.p2align	6
.LBB8_866:                              ;   in Loop: Header=BB8_864 Depth=2
	s_trap 2
	ds_read_b64 v[2:3], v0
	s_andn2_b32 s58, s58, exec_lo
	s_mov_b32 s57, 0
	s_waitcnt lgkmcnt(0)
	flat_load_dword v2, v[2:3] glc dlc
	s_waitcnt vmcnt(0) lgkmcnt(0)
	buffer_gl1_inv
	buffer_gl0_inv
	v_cmp_eq_u32_e32 vcc_lo, 0, v2
	s_and_b32 s59, vcc_lo, exec_lo
	s_or_b32 s58, s58, s59
	s_mov_b32 s60, -1
	s_or_b32 s56, s56, exec_lo
	s_and_saveexec_b32 s59, s58
	s_cbranch_execz .LBB8_863
.LBB8_867:                              ;   in Loop: Header=BB8_864 Depth=2
	s_sleep 1
	s_trap 2
	ds_read_b64 v[2:3], v0
	s_waitcnt lgkmcnt(0)
	buffer_gl0_inv
	s_andn2_b32 s56, s56, exec_lo
	v_cmp_ge_u64_e32 vcc_lo, v[2:3], v[24:25]
	s_orn2_b32 s60, vcc_lo, exec_lo
	s_branch .LBB8_863
.LBB8_868:                              ;   in Loop: Header=BB8_77 Depth=1
	s_or_b32 exec_lo, exec_lo, s45
	s_xor_b32 s19, s46, -1
	s_and_saveexec_b32 s45, s19
	s_xor_b32 s19, exec_lo, s45
	s_cbranch_execz .LBB8_870
; %bb.869:                              ;   in Loop: Header=BB8_77 Depth=1
	v_or_b32_e32 v52, 64, v52
	s_waitcnt vmcnt(0) lgkmcnt(0)
	s_waitcnt_vscnt null, 0x0
	ds_write_b32 v0, v9
	s_trap 2
.LBB8_870:                              ;   in Loop: Header=BB8_77 Depth=1
	s_or_b32 exec_lo, exec_lo, s19
.LBB8_871:                              ;   in Loop: Header=BB8_77 Depth=1
	s_or_b32 exec_lo, exec_lo, s43
	v_and_b32_e32 v9, 0x100, v52
	v_and_b32_e32 v13, 7, v8
	s_mov_b32 s19, -1
	;;#ASMSTART
	s_wakeup
	;;#ASMEND
	v_cmp_ne_u32_e32 vcc_lo, 0, v9
                                        ; implicit-def: $vgpr8_vgpr9
	s_and_saveexec_b32 s43, vcc_lo
	s_cbranch_execz .LBB8_875
; %bb.872:                              ;   in Loop: Header=BB8_77 Depth=1
	v_mad_u64_u32 v[10:11], null, v13, 24, v[6:7]
	flat_load_dword v8, v[10:11]
	s_waitcnt vmcnt(0) lgkmcnt(0)
	v_cmp_eq_u32_e64 s19, 1, v8
	v_cmp_ne_u32_e32 vcc_lo, 1, v8
                                        ; implicit-def: $vgpr8_vgpr9
	s_and_saveexec_b32 s45, s19
	s_cbranch_execz .LBB8_874
; %bb.873:                              ;   in Loop: Header=BB8_77 Depth=1
	flat_load_dword v8, v[10:11] offset:4 glc dlc
	s_waitcnt vmcnt(0) lgkmcnt(0)
	v_ashrrev_i32_e32 v9, 31, v8
.LBB8_874:                              ;   in Loop: Header=BB8_77 Depth=1
	s_or_b32 exec_lo, exec_lo, s45
	s_orn2_b32 s19, vcc_lo, exec_lo
.LBB8_875:                              ;   in Loop: Header=BB8_77 Depth=1
	s_or_b32 exec_lo, exec_lo, s43
	s_and_saveexec_b32 s43, s19
; %bb.876:                              ;   in Loop: Header=BB8_77 Depth=1
	v_mad_i64_i32 v[8:9], null, v13, v53, 0
; %bb.877:                              ;   in Loop: Header=BB8_77 Depth=1
	s_or_b32 exec_lo, exec_lo, s43
	v_add_co_u32 v8, vcc_lo, v22, v8
	v_and_b32_e32 v10, 0x2000, v52
	v_add_co_ci_u32_e64 v9, null, v23, v9, vcc_lo
	s_mov_b32 s19, exec_lo
	ds_write_b64 v0, v[8:9] offset:720
	v_cmpx_ne_u32_e32 0, v10
	s_cbranch_execz .LBB8_879
; %bb.878:                              ;   in Loop: Header=BB8_77 Depth=1
	ds_read_b64 v[8:9], v0 offset:872
	s_waitcnt lgkmcnt(0)
	v_add_co_u32 v8, vcc_lo, v8, 1
	v_add_co_ci_u32_e64 v9, null, 0, v9, vcc_lo
	ds_write_b64 v0, v[8:9] offset:872
.LBB8_879:                              ;   in Loop: Header=BB8_77 Depth=1
	s_or_b32 exec_lo, exec_lo, s19
	v_mov_b32_e32 v9, v3
	v_mov_b32_e32 v8, v2
	s_or_b32 exec_lo, exec_lo, s23
	s_and_saveexec_b32 s19, s7
	s_cbranch_execnz .LBB8_857
.LBB8_880:                              ;   in Loop: Header=BB8_77 Depth=1
	s_or_b32 exec_lo, exec_lo, s19
	s_and_saveexec_b32 s19, s15
	s_xor_b32 s23, exec_lo, s19
	s_cbranch_execz .LBB8_950
.LBB8_881:                              ;   in Loop: Header=BB8_77 Depth=1
	s_trap 2
	ds_read_b32 v2, v0
	v_sub_nc_u32_e32 v3, v101, v12
	v_min_i32_e32 v3, v36, v3
	v_cmp_lt_i32_e32 vcc_lo, 0, v3
	s_waitcnt lgkmcnt(0)
	v_readfirstlane_b32 s19, v2
	v_and_b32_e32 v2, 16, v52
	s_cmp_eq_u32 s19, 0
	v_cmp_ne_u32_e64 s19, 0, v2
	s_cselect_b32 s43, -1, 0
	s_and_b32 s43, vcc_lo, s43
	s_and_b32 s43, s19, s43
	s_and_saveexec_b32 s19, s43
	s_cbranch_execz .LBB8_883
; %bb.882:                              ;   in Loop: Header=BB8_77 Depth=1
	s_waitcnt vmcnt(0)
	s_waitcnt_vscnt null, 0x0
	buffer_gl1_inv
	buffer_gl0_inv
.LBB8_883:                              ;   in Loop: Header=BB8_77 Depth=1
	s_or_b32 exec_lo, exec_lo, s19
	s_andn2_saveexec_b32 s19, s23
	s_cbranch_execz .LBB8_994
	s_branch .LBB8_951
.LBB8_884:                              ;   in Loop: Header=BB8_77 Depth=1
	s_inst_prefetch 0x2
	s_or_b32 exec_lo, exec_lo, s47
	s_and_saveexec_b32 s47, s56
	s_xor_b32 s47, exec_lo, s47
	s_cbranch_execz .LBB8_886
; %bb.885:                              ;   in Loop: Header=BB8_77 Depth=1
	ds_write_b32 v0, v66
	s_trap 2
.LBB8_886:                              ;   in Loop: Header=BB8_77 Depth=1
	s_or_b32 exec_lo, exec_lo, s46
	;;#ASMSTART
	s_wakeup
	;;#ASMEND
.LBB8_887:                              ;   in Loop: Header=BB8_77 Depth=1
	s_or_b32 exec_lo, exec_lo, s45
.LBB8_888:                              ;   in Loop: Header=BB8_77 Depth=1
	s_andn2_saveexec_b32 s19, s19
	s_cbranch_execz .LBB8_890
; %bb.889:                              ;   in Loop: Header=BB8_77 Depth=1
	;;#ASMSTART
	s_waitcnt lgkmcnt(0) vmcnt(0)
	;;#ASMEND
	s_barrier
.LBB8_890:                              ;   in Loop: Header=BB8_77 Depth=1
	s_or_b32 exec_lo, exec_lo, s19
	v_and_b32_e32 v2, 16, v52
.LBB8_891:                              ;   in Loop: Header=BB8_77 Depth=1
	s_or_b32 exec_lo, exec_lo, s18
	s_mov_b32 s18, exec_lo
	v_cmpx_ne_u32_e32 0, v2
	s_cbranch_execz .LBB8_895
; %bb.892:                              ;   in Loop: Header=BB8_77 Depth=1
	s_and_saveexec_b32 s19, s11
	s_cbranch_execz .LBB8_894
; %bb.893:                              ;   in Loop: Header=BB8_77 Depth=1
	s_waitcnt vmcnt(0) lgkmcnt(0)
	s_waitcnt_vscnt null, 0x0
	flat_store_dword v[26:27], v66
.LBB8_894:                              ;   in Loop: Header=BB8_77 Depth=1
	s_or_b32 exec_lo, exec_lo, s19
	v_add_co_u32 v8, vcc_lo, v8, 1
	v_add_co_ci_u32_e64 v9, null, 0, v9, vcc_lo
	s_waitcnt vmcnt(0) lgkmcnt(0)
	s_waitcnt_vscnt null, 0x0
	flat_store_dwordx2 v[20:21], v[8:9]
.LBB8_895:                              ;   in Loop: Header=BB8_77 Depth=1
	s_or_b32 exec_lo, exec_lo, s18
	v_mov_b32_e32 v10, v36
.LBB8_896:                              ;   in Loop: Header=BB8_77 Depth=1
	s_or_b32 exec_lo, exec_lo, s23
	s_mov_b32 s19, s21
	s_mov_b32 s23, s20
	s_and_saveexec_b32 s18, s17
	s_cbranch_execz .LBB8_983
; %bb.897:                              ;   in Loop: Header=BB8_77 Depth=1
	v_sub_nc_u32_e32 v2, v101, v10
	v_and_b32_e32 v3, 8, v52
	s_mov_b32 s19, exec_lo
	v_min_i32_e32 v2, v36, v2
	v_cmpx_ne_u32_e32 0, v3
	s_cbranch_execz .LBB8_907
; %bb.898:                              ;   in Loop: Header=BB8_77 Depth=1
	s_waitcnt vmcnt(0) lgkmcnt(1)
	v_add_co_u32 v12, vcc_lo, v28, 8
	v_add_co_ci_u32_e64 v13, null, 0, v29, vcc_lo
	v_add_co_u32 v10, vcc_lo, v8, 1
	v_add_co_ci_u32_e64 v11, null, 0, v9, vcc_lo
	s_mov_b32 s23, exec_lo
	v_cmpx_lt_u64_e64 v[12:13], v[10:11]
	s_cbranch_execz .LBB8_923
; %bb.899:                              ;   in Loop: Header=BB8_77 Depth=1
	v_and_b32_e32 v3, 64, v52
	s_mov_b32 s45, 0
	s_mov_b32 s57, 0
                                        ; implicit-def: $sgpr46
                                        ; implicit-def: $sgpr47
                                        ; implicit-def: $sgpr56
	v_cmp_eq_u32_e32 vcc_lo, 0, v3
	s_branch .LBB8_903
.LBB8_900:                              ;   in Loop: Header=BB8_903 Depth=2
	s_waitcnt vmcnt(0) lgkmcnt(0)
	v_add_co_u32 v12, s17, v28, 8
	v_add_co_ci_u32_e64 v13, null, 0, v29, s17
	s_or_b32 s60, s60, exec_lo
	v_cmp_ge_u64_e64 s17, v[12:13], v[10:11]
	s_orn2_b32 s59, s17, exec_lo
.LBB8_901:                              ;   in Loop: Header=BB8_903 Depth=2
	s_or_b32 exec_lo, exec_lo, s62
	s_andn2_b32 s17, s56, exec_lo
	s_and_b32 s56, s60, exec_lo
	s_andn2_b32 s47, s47, exec_lo
	s_and_b32 s59, s59, exec_lo
	s_or_b32 s56, s17, s56
	s_or_b32 s47, s47, s59
.LBB8_902:                              ;   in Loop: Header=BB8_903 Depth=2
	s_or_b32 exec_lo, exec_lo, s58
	s_and_b32 s17, exec_lo, s47
	s_or_b32 s45, s17, s45
	s_andn2_b32 s17, s46, exec_lo
	s_and_b32 s46, s56, exec_lo
	s_or_b32 s46, s17, s46
	s_andn2_b32 exec_lo, exec_lo, s45
	s_cbranch_execz .LBB8_920
.LBB8_903:                              ;   Parent Loop BB8_77 Depth=1
                                        ; =>  This Inner Loop Header: Depth=2
	s_sleep 1
	s_waitcnt vmcnt(0) lgkmcnt(0)
	flat_load_dwordx2 v[28:29], v[20:21] glc dlc
	s_or_b32 s56, s56, exec_lo
	s_or_b32 s47, s47, exec_lo
                                        ; implicit-def: $vgpr3
	s_and_saveexec_b32 s58, vcc_lo
	s_cbranch_execz .LBB8_902
; %bb.904:                              ;   in Loop: Header=BB8_903 Depth=2
	s_cmpk_lt_i32 s57, 0x270f
	s_mov_b32 s59, -1
	s_cselect_b32 s61, -1, 0
	s_cmpk_gt_i32 s57, 0x270e
	s_cbranch_scc0 .LBB8_906
; %bb.905:                              ;   in Loop: Header=BB8_903 Depth=2
	s_trap 2
	ds_read_b64 v[12:13], v0
	s_andn2_b32 s57, s61, exec_lo
	s_mov_b32 s60, 0
	s_waitcnt vmcnt(0) lgkmcnt(0)
	s_waitcnt_vscnt null, 0x0
	flat_load_dword v3, v[12:13] glc dlc
	s_waitcnt vmcnt(0) lgkmcnt(0)
	buffer_gl1_inv
	buffer_gl0_inv
	v_cmp_eq_u32_e64 s17, 0, v3
	s_and_b32 s17, s17, exec_lo
	s_or_b32 s61, s57, s17
	s_mov_b32 s57, 0
	s_and_saveexec_b32 s62, s61
	s_cbranch_execz .LBB8_901
	s_branch .LBB8_900
.LBB8_906:                              ;   in Loop: Header=BB8_903 Depth=2
	s_add_i32 s57, s57, 1
	s_mov_b32 s60, -1
                                        ; implicit-def: $vgpr3
	s_and_saveexec_b32 s62, s61
	s_cbranch_execz .LBB8_901
	s_branch .LBB8_900
.LBB8_907:                              ;   in Loop: Header=BB8_77 Depth=1
	s_or_b32 exec_lo, exec_lo, s19
	s_and_saveexec_b32 s17, s7
	s_cbranch_execnz .LBB8_932
.LBB8_908:                              ;   in Loop: Header=BB8_77 Depth=1
	s_or_b32 exec_lo, exec_lo, s17
                                        ; implicit-def: $vgpr3
	s_and_saveexec_b32 s17, s41
	s_xor_b32 s17, exec_lo, s17
	s_cbranch_execz .LBB8_976
.LBB8_909:                              ;   in Loop: Header=BB8_77 Depth=1
	s_and_saveexec_b32 s19, s27
	s_xor_b32 s19, exec_lo, s19
	s_cbranch_execz .LBB8_966
; %bb.910:                              ;   in Loop: Header=BB8_77 Depth=1
	s_and_saveexec_b32 s23, s12
	s_cbranch_execz .LBB8_965
; %bb.911:                              ;   in Loop: Header=BB8_77 Depth=1
	s_mov_b32 s46, exec_lo
	s_mov_b32 s45, exec_lo
	v_mbcnt_lo_u32_b32 v2, s46, 0
	;;#ASMSTART
	s_waitcnt lgkmcnt(0) vmcnt(0)
	;;#ASMEND
	v_cmpx_eq_u32_e32 0, v2
	s_cbranch_execz .LBB8_913
; %bb.912:                              ;   in Loop: Header=BB8_77 Depth=1
	s_bcnt1_i32_b32 s46, s46
	v_mov_b32_e32 v3, v1
	v_mov_b32_e32 v2, s46
	s_waitcnt vmcnt(0) lgkmcnt(0)
	s_waitcnt_vscnt null, 0x0
	ds_add_u64 v0, v[2:3]
	s_trap 2
.LBB8_913:                              ;   in Loop: Header=BB8_77 Depth=1
	s_or_b32 exec_lo, exec_lo, s45
	s_trap 2
	ds_read_b64 v[2:3], v0
	s_waitcnt vmcnt(0) lgkmcnt(0)
	buffer_gl0_inv
	v_add_co_u32 v24, vcc_lo, v24, v55
	v_add_co_ci_u32_e64 v25, null, 0, v25, vcc_lo
	s_mov_b32 s45, exec_lo
	v_cmpx_lt_u64_e64 v[2:3], v[24:25]
	s_cbranch_execz .LBB8_964
; %bb.914:                              ;   in Loop: Header=BB8_77 Depth=1
	s_mov_b32 s46, 0
	s_mov_b32 s57, 0
                                        ; implicit-def: $sgpr47
                                        ; implicit-def: $sgpr56
	s_inst_prefetch 0x1
	s_branch .LBB8_916
	.p2align	6
.LBB8_915:                              ;   in Loop: Header=BB8_916 Depth=2
	s_or_b32 exec_lo, exec_lo, s59
	s_and_b32 s58, exec_lo, s60
	s_or_b32 s46, s58, s46
	s_andn2_b32 s47, s47, exec_lo
	s_and_b32 s58, s56, exec_lo
	s_or_b32 s47, s47, s58
	s_andn2_b32 exec_lo, exec_lo, s46
	s_cbranch_execz .LBB8_962
.LBB8_916:                              ;   Parent Loop BB8_77 Depth=1
                                        ; =>  This Inner Loop Header: Depth=2
	s_add_i32 s57, s57, 1
	s_cmpk_lg_i32 s57, 0x2710
	s_cselect_b32 s58, -1, 0
	s_and_b32 vcc_lo, exec_lo, s58
	s_cbranch_vccz .LBB8_918
; %bb.917:                              ;   in Loop: Header=BB8_916 Depth=2
	s_mov_b32 s60, -1
	s_or_b32 s56, s56, exec_lo
	s_and_saveexec_b32 s59, s58
	s_cbranch_execz .LBB8_915
	s_branch .LBB8_919
	.p2align	6
.LBB8_918:                              ;   in Loop: Header=BB8_916 Depth=2
	s_trap 2
	ds_read_b64 v[2:3], v0
	s_andn2_b32 s58, s58, exec_lo
	s_mov_b32 s57, 0
	s_waitcnt lgkmcnt(0)
	s_waitcnt_vscnt null, 0x0
	flat_load_dword v2, v[2:3] glc dlc
	s_waitcnt vmcnt(0) lgkmcnt(0)
	buffer_gl1_inv
	buffer_gl0_inv
	v_cmp_eq_u32_e32 vcc_lo, 0, v2
	s_and_b32 s59, vcc_lo, exec_lo
	s_or_b32 s58, s58, s59
	s_mov_b32 s60, -1
	s_or_b32 s56, s56, exec_lo
	s_and_saveexec_b32 s59, s58
	s_cbranch_execz .LBB8_915
.LBB8_919:                              ;   in Loop: Header=BB8_916 Depth=2
	s_sleep 1
	s_trap 2
	ds_read_b64 v[2:3], v0
	s_waitcnt lgkmcnt(0)
	buffer_gl0_inv
	s_andn2_b32 s56, s56, exec_lo
	v_cmp_ge_u64_e32 vcc_lo, v[2:3], v[24:25]
	s_orn2_b32 s60, vcc_lo, exec_lo
	s_branch .LBB8_915
.LBB8_920:                              ;   in Loop: Header=BB8_77 Depth=1
	s_or_b32 exec_lo, exec_lo, s45
	s_xor_b32 s17, s46, -1
	s_and_saveexec_b32 s45, s17
	s_xor_b32 s17, exec_lo, s45
	s_cbranch_execz .LBB8_922
; %bb.921:                              ;   in Loop: Header=BB8_77 Depth=1
	v_or_b32_e32 v52, 64, v52
	s_waitcnt vmcnt(0) lgkmcnt(0)
	s_waitcnt_vscnt null, 0x0
	ds_write_b32 v0, v3
	s_trap 2
.LBB8_922:                              ;   in Loop: Header=BB8_77 Depth=1
	s_or_b32 exec_lo, exec_lo, s17
.LBB8_923:                              ;   in Loop: Header=BB8_77 Depth=1
	s_or_b32 exec_lo, exec_lo, s23
	v_and_b32_e32 v3, 0x100, v52
	v_and_b32_e32 v36, 7, v8
	s_mov_b32 s17, -1
	s_mov_b32 s23, exec_lo
	;;#ASMSTART
	s_wakeup
	;;#ASMEND
                                        ; implicit-def: $vgpr8_vgpr9
	v_cmpx_ne_u32_e32 0, v3
	s_cbranch_execz .LBB8_927
; %bb.924:                              ;   in Loop: Header=BB8_77 Depth=1
	v_mad_u64_u32 v[12:13], null, v36, 24, v[6:7]
	v_ashrrev_i32_e32 v3, 31, v2
	flat_load_dword v8, v[12:13]
	flat_store_dwordx2 v[12:13], v[2:3] offset:8
	s_waitcnt vmcnt(0) lgkmcnt(1)
	v_cmp_eq_u32_e64 s17, 1, v8
	v_cmp_ne_u32_e32 vcc_lo, 1, v8
                                        ; implicit-def: $vgpr8_vgpr9
	s_and_saveexec_b32 s45, s17
	s_cbranch_execz .LBB8_926
; %bb.925:                              ;   in Loop: Header=BB8_77 Depth=1
	flat_load_dword v8, v[12:13] offset:4 glc dlc
	s_waitcnt vmcnt(0) lgkmcnt(0)
	v_ashrrev_i32_e32 v9, 31, v8
.LBB8_926:                              ;   in Loop: Header=BB8_77 Depth=1
	s_or_b32 exec_lo, exec_lo, s45
	s_orn2_b32 s17, vcc_lo, exec_lo
.LBB8_927:                              ;   in Loop: Header=BB8_77 Depth=1
	s_or_b32 exec_lo, exec_lo, s23
	s_and_saveexec_b32 s23, s17
; %bb.928:                              ;   in Loop: Header=BB8_77 Depth=1
	v_mad_i64_i32 v[8:9], null, v36, v53, 0
; %bb.929:                              ;   in Loop: Header=BB8_77 Depth=1
	s_or_b32 exec_lo, exec_lo, s23
	v_add_co_u32 v8, vcc_lo, v22, v8
	v_and_b32_e32 v3, 0x2000, v52
	v_add_co_ci_u32_e64 v9, null, v23, v9, vcc_lo
	s_mov_b32 s17, exec_lo
	ds_write_b64 v0, v[8:9] offset:784
	v_cmpx_ne_u32_e32 0, v3
	s_cbranch_execz .LBB8_931
; %bb.930:                              ;   in Loop: Header=BB8_77 Depth=1
	ds_read_b64 v[8:9], v0 offset:872
	s_waitcnt lgkmcnt(0)
	v_add_co_u32 v8, vcc_lo, v8, 1
	v_add_co_ci_u32_e64 v9, null, 0, v9, vcc_lo
	ds_write_b64 v0, v[8:9] offset:872
.LBB8_931:                              ;   in Loop: Header=BB8_77 Depth=1
	s_or_b32 exec_lo, exec_lo, s17
	v_mov_b32_e32 v8, v10
	v_mov_b32_e32 v9, v11
	s_or_b32 exec_lo, exec_lo, s19
	s_and_saveexec_b32 s17, s7
	s_cbranch_execz .LBB8_908
.LBB8_932:                              ;   in Loop: Header=BB8_77 Depth=1
	s_and_saveexec_b32 s19, s27
	s_xor_b32 s19, exec_lo, s19
	s_cbranch_execz .LBB8_973
; %bb.933:                              ;   in Loop: Header=BB8_77 Depth=1
	s_and_saveexec_b32 s23, s12
	s_cbranch_execz .LBB8_972
; %bb.934:                              ;   in Loop: Header=BB8_77 Depth=1
	s_mov_b32 s46, exec_lo
	s_mov_b32 s45, exec_lo
	v_mbcnt_lo_u32_b32 v3, s46, 0
	s_waitcnt vmcnt(0) lgkmcnt(0)
	s_waitcnt_vscnt null, 0x0
	buffer_gl1_inv
	buffer_gl0_inv
	v_cmpx_eq_u32_e32 0, v3
	s_cbranch_execz .LBB8_936
; %bb.935:                              ;   in Loop: Header=BB8_77 Depth=1
	s_bcnt1_i32_b32 s46, s46
	v_mov_b32_e32 v11, v1
	v_mov_b32_e32 v10, s46
	ds_add_u64 v0, v[10:11]
	s_trap 2
.LBB8_936:                              ;   in Loop: Header=BB8_77 Depth=1
	s_or_b32 exec_lo, exec_lo, s45
	s_trap 2
	ds_read_b64 v[10:11], v0
	s_waitcnt lgkmcnt(0)
	buffer_gl0_inv
	v_add_co_u32 v24, vcc_lo, v24, v55
	v_add_co_ci_u32_e64 v25, null, 0, v25, vcc_lo
	s_mov_b32 s45, exec_lo
	v_cmpx_lt_u64_e64 v[10:11], v[24:25]
	s_cbranch_execz .LBB8_971
; %bb.937:                              ;   in Loop: Header=BB8_77 Depth=1
	s_mov_b32 s46, 0
	s_mov_b32 s57, 0
                                        ; implicit-def: $sgpr47
                                        ; implicit-def: $sgpr56
	s_inst_prefetch 0x1
	s_branch .LBB8_939
	.p2align	6
.LBB8_938:                              ;   in Loop: Header=BB8_939 Depth=2
	s_or_b32 exec_lo, exec_lo, s59
	s_and_b32 s58, exec_lo, s60
	s_or_b32 s46, s58, s46
	s_andn2_b32 s47, s47, exec_lo
	s_and_b32 s58, s56, exec_lo
	s_or_b32 s47, s47, s58
	s_andn2_b32 exec_lo, exec_lo, s46
	s_cbranch_execz .LBB8_969
.LBB8_939:                              ;   Parent Loop BB8_77 Depth=1
                                        ; =>  This Inner Loop Header: Depth=2
	s_add_i32 s57, s57, 1
	s_cmpk_lg_i32 s57, 0x2710
	s_cselect_b32 s58, -1, 0
	s_and_b32 vcc_lo, exec_lo, s58
	s_cbranch_vccz .LBB8_941
; %bb.940:                              ;   in Loop: Header=BB8_939 Depth=2
	s_mov_b32 s60, -1
	s_or_b32 s56, s56, exec_lo
	s_and_saveexec_b32 s59, s58
	s_cbranch_execz .LBB8_938
	s_branch .LBB8_942
	.p2align	6
.LBB8_941:                              ;   in Loop: Header=BB8_939 Depth=2
	s_trap 2
	ds_read_b64 v[10:11], v0
	s_andn2_b32 s58, s58, exec_lo
	s_mov_b32 s57, 0
	s_waitcnt lgkmcnt(0)
	flat_load_dword v3, v[10:11] glc dlc
	s_waitcnt vmcnt(0) lgkmcnt(0)
	buffer_gl1_inv
	buffer_gl0_inv
	v_cmp_eq_u32_e32 vcc_lo, 0, v3
	s_and_b32 s59, vcc_lo, exec_lo
	s_or_b32 s58, s58, s59
	s_mov_b32 s60, -1
	s_or_b32 s56, s56, exec_lo
	s_and_saveexec_b32 s59, s58
	s_cbranch_execz .LBB8_938
.LBB8_942:                              ;   in Loop: Header=BB8_939 Depth=2
	s_sleep 1
	s_trap 2
	ds_read_b64 v[10:11], v0
	s_waitcnt lgkmcnt(0)
	buffer_gl0_inv
	s_andn2_b32 s56, s56, exec_lo
	v_cmp_ge_u64_e32 vcc_lo, v[10:11], v[24:25]
	s_orn2_b32 s60, vcc_lo, exec_lo
	s_branch .LBB8_938
.LBB8_943:                              ;   in Loop: Header=BB8_77 Depth=1
	s_inst_prefetch 0x2
	s_or_b32 exec_lo, exec_lo, s46
	s_and_saveexec_b32 s46, s47
	s_xor_b32 s46, exec_lo, s46
	s_cbranch_execz .LBB8_945
; %bb.944:                              ;   in Loop: Header=BB8_77 Depth=1
	ds_write_b32 v0, v66
	s_trap 2
.LBB8_945:                              ;   in Loop: Header=BB8_77 Depth=1
	s_or_b32 exec_lo, exec_lo, s45
	;;#ASMSTART
	s_wakeup
	;;#ASMEND
.LBB8_946:                              ;   in Loop: Header=BB8_77 Depth=1
	s_or_b32 exec_lo, exec_lo, s43
.LBB8_947:                              ;   in Loop: Header=BB8_77 Depth=1
	s_andn2_saveexec_b32 s23, s23
	s_cbranch_execz .LBB8_949
; %bb.948:                              ;   in Loop: Header=BB8_77 Depth=1
	s_waitcnt vmcnt(0) lgkmcnt(0)
	s_waitcnt_vscnt null, 0x0
	buffer_gl1_inv
	buffer_gl0_inv
	s_barrier
.LBB8_949:                              ;   in Loop: Header=BB8_77 Depth=1
	s_or_b32 exec_lo, exec_lo, s23
	s_or_b32 exec_lo, exec_lo, s19
	s_and_saveexec_b32 s19, s15
	s_xor_b32 s23, exec_lo, s19
	s_cbranch_execnz .LBB8_881
.LBB8_950:                              ;   in Loop: Header=BB8_77 Depth=1
	s_andn2_saveexec_b32 s19, s23
	s_cbranch_execz .LBB8_994
.LBB8_951:                              ;   in Loop: Header=BB8_77 Depth=1
	s_and_saveexec_b32 s23, s27
	s_xor_b32 s23, exec_lo, s23
	s_cbranch_execz .LBB8_991
; %bb.952:                              ;   in Loop: Header=BB8_77 Depth=1
	s_and_saveexec_b32 s43, s12
	s_cbranch_execz .LBB8_990
; %bb.953:                              ;   in Loop: Header=BB8_77 Depth=1
	s_mov_b32 s46, exec_lo
	s_mov_b32 s45, exec_lo
	v_mbcnt_lo_u32_b32 v2, s46, 0
	;;#ASMSTART
	s_waitcnt lgkmcnt(0) vmcnt(0)
	;;#ASMEND
	v_cmpx_eq_u32_e32 0, v2
	s_cbranch_execz .LBB8_955
; %bb.954:                              ;   in Loop: Header=BB8_77 Depth=1
	s_bcnt1_i32_b32 s46, s46
	v_mov_b32_e32 v3, v1
	v_mov_b32_e32 v2, s46
	s_waitcnt vmcnt(0) lgkmcnt(0)
	s_waitcnt_vscnt null, 0x0
	ds_add_u64 v0, v[2:3]
	s_trap 2
.LBB8_955:                              ;   in Loop: Header=BB8_77 Depth=1
	s_or_b32 exec_lo, exec_lo, s45
	s_trap 2
	ds_read_b64 v[2:3], v0
	s_waitcnt vmcnt(0) lgkmcnt(0)
	buffer_gl0_inv
	v_add_co_u32 v24, vcc_lo, v24, v55
	v_add_co_ci_u32_e64 v25, null, 0, v25, vcc_lo
	s_mov_b32 s45, exec_lo
	v_cmpx_lt_u64_e64 v[2:3], v[24:25]
	s_cbranch_execz .LBB8_989
; %bb.956:                              ;   in Loop: Header=BB8_77 Depth=1
	s_mov_b32 s46, 0
	s_mov_b32 s57, 0
                                        ; implicit-def: $sgpr47
                                        ; implicit-def: $sgpr56
	s_inst_prefetch 0x1
	s_branch .LBB8_958
	.p2align	6
.LBB8_957:                              ;   in Loop: Header=BB8_958 Depth=2
	s_or_b32 exec_lo, exec_lo, s59
	s_and_b32 s58, exec_lo, s60
	s_or_b32 s46, s58, s46
	s_andn2_b32 s47, s47, exec_lo
	s_and_b32 s58, s56, exec_lo
	s_or_b32 s47, s47, s58
	s_andn2_b32 exec_lo, exec_lo, s46
	s_cbranch_execz .LBB8_987
.LBB8_958:                              ;   Parent Loop BB8_77 Depth=1
                                        ; =>  This Inner Loop Header: Depth=2
	s_add_i32 s57, s57, 1
	s_cmpk_lg_i32 s57, 0x2710
	s_cselect_b32 s58, -1, 0
	s_and_b32 vcc_lo, exec_lo, s58
	s_cbranch_vccz .LBB8_960
; %bb.959:                              ;   in Loop: Header=BB8_958 Depth=2
	s_mov_b32 s60, -1
	s_or_b32 s56, s56, exec_lo
	s_and_saveexec_b32 s59, s58
	s_cbranch_execz .LBB8_957
	s_branch .LBB8_961
	.p2align	6
.LBB8_960:                              ;   in Loop: Header=BB8_958 Depth=2
	s_trap 2
	ds_read_b64 v[2:3], v0
	s_andn2_b32 s58, s58, exec_lo
	s_mov_b32 s57, 0
	s_waitcnt lgkmcnt(0)
	s_waitcnt_vscnt null, 0x0
	flat_load_dword v2, v[2:3] glc dlc
	s_waitcnt vmcnt(0) lgkmcnt(0)
	buffer_gl1_inv
	buffer_gl0_inv
	v_cmp_eq_u32_e32 vcc_lo, 0, v2
	s_and_b32 s59, vcc_lo, exec_lo
	s_or_b32 s58, s58, s59
	s_mov_b32 s60, -1
	s_or_b32 s56, s56, exec_lo
	s_and_saveexec_b32 s59, s58
	s_cbranch_execz .LBB8_957
.LBB8_961:                              ;   in Loop: Header=BB8_958 Depth=2
	s_sleep 1
	s_trap 2
	ds_read_b64 v[2:3], v0
	s_waitcnt lgkmcnt(0)
	buffer_gl0_inv
	s_andn2_b32 s56, s56, exec_lo
	v_cmp_ge_u64_e32 vcc_lo, v[2:3], v[24:25]
	s_orn2_b32 s60, vcc_lo, exec_lo
	s_branch .LBB8_957
.LBB8_962:                              ;   in Loop: Header=BB8_77 Depth=1
	s_inst_prefetch 0x2
	s_or_b32 exec_lo, exec_lo, s46
	s_and_saveexec_b32 s46, s47
	s_xor_b32 s46, exec_lo, s46
	s_cbranch_execz .LBB8_964
; %bb.963:                              ;   in Loop: Header=BB8_77 Depth=1
	ds_write_b32 v0, v66
	s_trap 2
.LBB8_964:                              ;   in Loop: Header=BB8_77 Depth=1
	s_or_b32 exec_lo, exec_lo, s45
	;;#ASMSTART
	s_wakeup
	;;#ASMEND
.LBB8_965:                              ;   in Loop: Header=BB8_77 Depth=1
	s_or_b32 exec_lo, exec_lo, s23
.LBB8_966:                              ;   in Loop: Header=BB8_77 Depth=1
	s_andn2_saveexec_b32 s19, s19
	s_cbranch_execz .LBB8_968
; %bb.967:                              ;   in Loop: Header=BB8_77 Depth=1
	;;#ASMSTART
	s_waitcnt lgkmcnt(0) vmcnt(0)
	;;#ASMEND
	s_barrier
.LBB8_968:                              ;   in Loop: Header=BB8_77 Depth=1
	s_or_b32 exec_lo, exec_lo, s19
	v_and_b32_e32 v3, 16, v52
                                        ; implicit-def: $vgpr2
	s_andn2_saveexec_b32 s19, s17
	s_cbranch_execz .LBB8_980
	s_branch .LBB8_977
.LBB8_969:                              ;   in Loop: Header=BB8_77 Depth=1
	s_inst_prefetch 0x2
	s_or_b32 exec_lo, exec_lo, s46
	s_and_saveexec_b32 s46, s47
	s_xor_b32 s46, exec_lo, s46
	s_cbranch_execz .LBB8_971
; %bb.970:                              ;   in Loop: Header=BB8_77 Depth=1
	ds_write_b32 v0, v66
	s_trap 2
.LBB8_971:                              ;   in Loop: Header=BB8_77 Depth=1
	s_or_b32 exec_lo, exec_lo, s45
	;;#ASMSTART
	s_wakeup
	;;#ASMEND
.LBB8_972:                              ;   in Loop: Header=BB8_77 Depth=1
	s_or_b32 exec_lo, exec_lo, s23
.LBB8_973:                              ;   in Loop: Header=BB8_77 Depth=1
	s_andn2_saveexec_b32 s19, s19
	s_cbranch_execz .LBB8_975
; %bb.974:                              ;   in Loop: Header=BB8_77 Depth=1
	s_waitcnt vmcnt(0) lgkmcnt(0)
	s_waitcnt_vscnt null, 0x0
	buffer_gl1_inv
	buffer_gl0_inv
	s_barrier
.LBB8_975:                              ;   in Loop: Header=BB8_77 Depth=1
	s_or_b32 exec_lo, exec_lo, s19
	s_or_b32 exec_lo, exec_lo, s17
                                        ; implicit-def: $vgpr3
	s_and_saveexec_b32 s17, s41
	s_xor_b32 s17, exec_lo, s17
	s_cbranch_execnz .LBB8_909
.LBB8_976:                              ;   in Loop: Header=BB8_77 Depth=1
	s_andn2_saveexec_b32 s19, s17
	s_cbranch_execz .LBB8_980
.LBB8_977:                              ;   in Loop: Header=BB8_77 Depth=1
	s_trap 2
	ds_read_b32 v3, v0
	v_cmp_lt_i32_e32 vcc_lo, 0, v2
	s_waitcnt lgkmcnt(0)
	v_readfirstlane_b32 s17, v3
	v_and_b32_e32 v3, 16, v52
	s_cmp_eq_u32 s17, 0
	v_cmp_ne_u32_e64 s17, 0, v3
	s_cselect_b32 s23, -1, 0
	v_and_b32_e32 v3, 16, v52
	s_and_b32 s23, vcc_lo, s23
	s_and_b32 s23, s17, s23
	s_and_saveexec_b32 s17, s23
	s_cbranch_execz .LBB8_979
; %bb.978:                              ;   in Loop: Header=BB8_77 Depth=1
	v_mov_b32_e32 v3, 1
	s_waitcnt vmcnt(0)
	s_waitcnt_vscnt null, 0x0
	buffer_gl1_inv
	buffer_gl0_inv
.LBB8_979:                              ;   in Loop: Header=BB8_77 Depth=1
	s_or_b32 exec_lo, exec_lo, s17
.LBB8_980:                              ;   in Loop: Header=BB8_77 Depth=1
	s_or_b32 exec_lo, exec_lo, s19
	s_mov_b32 s17, s21
	s_mov_b32 s23, s20
	s_mov_b32 s19, exec_lo
	v_cmpx_ne_u32_e32 0, v3
; %bb.981:                              ;   in Loop: Header=BB8_77 Depth=1
	s_andn2_b32 s17, s20, exec_lo
	s_and_b32 s23, s10, exec_lo
	s_andn2_b32 s45, s21, exec_lo
	s_and_b32 s46, s11, exec_lo
	s_or_b32 s23, s17, s23
	s_or_b32 s17, s45, s46
; %bb.982:                              ;   in Loop: Header=BB8_77 Depth=1
	s_or_b32 exec_lo, exec_lo, s19
	s_andn2_b32 s19, s20, exec_lo
	s_and_b32 s23, s23, exec_lo
	s_andn2_b32 s45, s21, exec_lo
	s_and_b32 s17, s17, exec_lo
	s_or_b32 s23, s19, s23
	s_or_b32 s19, s45, s17
.LBB8_983:                              ;   in Loop: Header=BB8_77 Depth=1
	s_or_b32 exec_lo, exec_lo, s18
	s_andn2_b32 s17, s20, exec_lo
	s_and_b32 s18, s23, exec_lo
	s_andn2_b32 s21, s21, exec_lo
	s_and_b32 s19, s19, exec_lo
	s_or_b32 s20, s17, s18
	s_or_b32 s21, s21, s19
.LBB8_984:                              ;   in Loop: Header=BB8_77 Depth=1
	s_or_b32 exec_lo, exec_lo, s22
	s_and_saveexec_b32 s17, s21
	s_cbranch_execz .LBB8_986
; %bb.985:                              ;   in Loop: Header=BB8_77 Depth=1
	s_or_b32 s20, s20, exec_lo
	s_waitcnt vmcnt(0) lgkmcnt(0)
	s_waitcnt_vscnt null, 0x0
	flat_store_dword v[26:27], v66
.LBB8_986:                              ;   in Loop: Header=BB8_77 Depth=1
	s_or_b32 exec_lo, exec_lo, s17
	s_andn2_b32 s17, s43, exec_lo
	s_and_b32 s18, s20, exec_lo
	s_or_b32 s43, s17, s18
	s_or_b32 exec_lo, exec_lo, s44
	s_and_saveexec_b32 s17, s43
	s_cbranch_execz .LBB8_76
	s_branch .LBB8_998
.LBB8_987:                              ;   in Loop: Header=BB8_77 Depth=1
	s_inst_prefetch 0x2
	s_or_b32 exec_lo, exec_lo, s46
	s_and_saveexec_b32 s46, s47
	s_xor_b32 s46, exec_lo, s46
	s_cbranch_execz .LBB8_989
; %bb.988:                              ;   in Loop: Header=BB8_77 Depth=1
	ds_write_b32 v0, v66
	s_trap 2
.LBB8_989:                              ;   in Loop: Header=BB8_77 Depth=1
	s_or_b32 exec_lo, exec_lo, s45
	;;#ASMSTART
	s_wakeup
	;;#ASMEND
.LBB8_990:                              ;   in Loop: Header=BB8_77 Depth=1
	s_or_b32 exec_lo, exec_lo, s43
.LBB8_991:                              ;   in Loop: Header=BB8_77 Depth=1
	s_andn2_saveexec_b32 s23, s23
	s_cbranch_execz .LBB8_993
; %bb.992:                              ;   in Loop: Header=BB8_77 Depth=1
	;;#ASMSTART
	s_waitcnt lgkmcnt(0) vmcnt(0)
	;;#ASMEND
	s_barrier
.LBB8_993:                              ;   in Loop: Header=BB8_77 Depth=1
	s_or_b32 exec_lo, exec_lo, s23
.LBB8_994:                              ;   in Loop: Header=BB8_77 Depth=1
	s_or_b32 exec_lo, exec_lo, s19
	v_and_b32_e32 v2, 32, v52
	s_andn2_b32 s19, s21, exec_lo
	v_cmp_ne_u32_e32 vcc_lo, 0, v2
	s_and_b32 s23, vcc_lo, exec_lo
	s_or_b32 s19, s19, s23
.LBB8_995:                              ;   in Loop: Header=BB8_77 Depth=1
	s_or_b32 exec_lo, exec_lo, s20
	s_andn2_b32 s20, s21, exec_lo
	s_and_b32 s19, s19, exec_lo
	s_or_b32 s21, s20, s19
.LBB8_996:                              ;   in Loop: Header=BB8_77 Depth=1
	s_or_b32 exec_lo, exec_lo, s22
	s_and_b32 s43, s21, exec_lo
                                        ; implicit-def: $vgpr36
                                        ; implicit-def: $vgpr101
                                        ; implicit-def: $vgpr2
                                        ; implicit-def: $vgpr3
	s_andn2_saveexec_b32 s44, s44
	s_cbranch_execnz .LBB8_86
.LBB8_997:                              ;   in Loop: Header=BB8_77 Depth=1
	s_or_b32 exec_lo, exec_lo, s44
	s_and_saveexec_b32 s17, s43
	s_cbranch_execz .LBB8_76
.LBB8_998:                              ;   in Loop: Header=BB8_77 Depth=1
	v_add_co_u32 v8, vcc_lo, v8, 1
	v_add_co_ci_u32_e64 v9, null, 0, v9, vcc_lo
	s_waitcnt vmcnt(0) lgkmcnt(0)
	s_waitcnt_vscnt null, 0x0
	flat_store_dwordx2 v[20:21], v[8:9]
	s_branch .LBB8_76
.LBB8_999:
	s_or_b32 exec_lo, exec_lo, s28
.LBB8_1000:
	s_or_b32 exec_lo, exec_lo, s26
	v_and_b32_e32 v0, 0x800, v52
	s_mov_b32 s5, exec_lo
	v_cmpx_eq_u32_e32 0, v0
	s_cbranch_execz .LBB8_1033
; %bb.1001:
	v_and_b32_e32 v0, 48, v52
	s_mov_b32 s4, exec_lo
	v_cmpx_ne_u32_e32 0, v0
	s_cbranch_execz .LBB8_1003
; %bb.1002:
	s_waitcnt vmcnt(0) lgkmcnt(0)
	flat_store_dwordx2 v[18:19], v[8:9] offset:104
.LBB8_1003:
	s_or_b32 exec_lo, exec_lo, s4
	v_and_b32_e32 v0, 0x88, v52
	s_mov_b32 s6, exec_lo
	v_cmpx_eq_u32_e32 0x88, v0
	s_cbranch_execz .LBB8_1013
; %bb.1004:
	s_waitcnt vmcnt(0) lgkmcnt(0)
	v_add_nc_u32_e32 v0, -1, v8
	v_and_b32_e32 v4, 64, v52
	s_mov_b32 s7, 0
	v_and_b32_e32 v0, 7, v0
	v_cmp_eq_u32_e64 s4, 0, v4
	v_mad_u64_u32 v[0:1], null, v0, 24, v[6:7]
	flat_load_dwordx2 v[2:3], v[0:1] offset:8 glc dlc
	s_waitcnt vmcnt(0) lgkmcnt(0)
	v_cmp_ne_u64_e32 vcc_lo, -1, v[2:3]
	s_and_b32 s4, vcc_lo, s4
	s_and_b32 exec_lo, exec_lo, s4
	s_cbranch_execz .LBB8_1013
; %bb.1005:
	s_mov_b32 s11, 0
                                        ; implicit-def: $sgpr4
                                        ; implicit-def: $sgpr10
	s_inst_prefetch 0x1
	s_branch .LBB8_1008
	.p2align	6
.LBB8_1006:                             ;   in Loop: Header=BB8_1008 Depth=1
	flat_load_dwordx2 v[3:4], v[0:1] offset:8 glc dlc
	s_waitcnt vmcnt(0)
	s_andn2_b32 s10, s10, exec_lo
	s_waitcnt lgkmcnt(0)
	v_cmp_eq_u64_e32 vcc_lo, -1, v[3:4]
	s_orn2_b32 s13, vcc_lo, exec_lo
.LBB8_1007:                             ;   in Loop: Header=BB8_1008 Depth=1
	s_or_b32 exec_lo, exec_lo, s14
	s_and_b32 s12, exec_lo, s13
	s_or_b32 s7, s12, s7
	s_andn2_b32 s4, s4, exec_lo
	s_and_b32 s12, s10, exec_lo
	s_or_b32 s4, s4, s12
	s_andn2_b32 exec_lo, exec_lo, s7
	s_cbranch_execz .LBB8_1011
.LBB8_1008:                             ; =>This Inner Loop Header: Depth=1
	s_cmpk_lt_i32 s11, 0x270f
	s_cselect_b32 s12, -1, 0
	s_and_b32 vcc_lo, exec_lo, s12
	s_cbranch_vccnz .LBB8_1010
; %bb.1009:                             ;   in Loop: Header=BB8_1008 Depth=1
	s_trap 2
	ds_read_b64 v[2:3], v0
	s_andn2_b32 s12, s12, exec_lo
	s_mov_b32 s11, 0
	s_waitcnt lgkmcnt(0)
	s_waitcnt_vscnt null, 0x0
	flat_load_dword v2, v[2:3] glc dlc
	s_waitcnt vmcnt(0) lgkmcnt(0)
	buffer_gl1_inv
	buffer_gl0_inv
	v_cmp_eq_u32_e32 vcc_lo, 0, v2
	s_and_b32 s13, vcc_lo, exec_lo
	s_or_b32 s12, s12, s13
	s_mov_b32 s13, -1
	s_or_b32 s10, s10, exec_lo
	s_and_saveexec_b32 s14, s12
	s_cbranch_execz .LBB8_1007
	s_branch .LBB8_1006
	.p2align	6
.LBB8_1010:                             ;   in Loop: Header=BB8_1008 Depth=1
	s_add_i32 s11, s11, 1
                                        ; implicit-def: $vgpr2
	s_mov_b32 s13, -1
	s_or_b32 s10, s10, exec_lo
	s_and_saveexec_b32 s14, s12
	s_cbranch_execz .LBB8_1007
	s_branch .LBB8_1006
.LBB8_1011:
	s_inst_prefetch 0x2
	s_or_b32 exec_lo, exec_lo, s7
	s_and_saveexec_b32 s7, s4
	s_xor_b32 s7, exec_lo, s7
	s_cbranch_execz .LBB8_1013
; %bb.1012:
	s_waitcnt_vscnt null, 0x0
	ds_write_b32 v0, v2
	s_trap 2
.LBB8_1013:
	s_or_b32 exec_lo, exec_lo, s6
	v_and_b32_e32 v0, 0x2000, v52
	s_mov_b32 s4, exec_lo
	v_cmpx_ne_u32_e32 0, v0
	s_cbranch_execz .LBB8_1015
; %bb.1014:
	ds_read_b64 v[0:1], v0 offset:872
	s_waitcnt lgkmcnt(0)
	flat_store_dwordx2 v[16:17], v[0:1] offset:16
.LBB8_1015:
	s_or_b32 exec_lo, exec_lo, s4
	v_cmp_ne_u32_e32 vcc_lo, 32, v30
	s_and_b32 exec_lo, exec_lo, vcc_lo
	s_cbranch_execz .LBB8_1033
; %bb.1016:
	s_waitcnt vmcnt(0)
	v_cmp_ne_u32_sdwa s4, v30, v39 src0_sel:DWORD src1_sel:WORD_0
	s_and_saveexec_b32 s6, s4
	s_xor_b32 s4, exec_lo, s6
	s_cbranch_execz .LBB8_1031
; %bb.1017:
	v_and_b32_e32 v0, 31, v31
	s_mov_b32 s6, exec_lo
	v_cmpx_eq_u32_e32 0, v0
	s_cbranch_execz .LBB8_1030
; %bb.1018:
	s_mov_b32 s10, exec_lo
	s_mov_b32 s7, exec_lo
	v_mbcnt_lo_u32_b32 v0, s10, 0
	s_waitcnt lgkmcnt(0)
	s_waitcnt_vscnt null, 0x0
	buffer_gl1_inv
	buffer_gl0_inv
	v_cmpx_eq_u32_e32 0, v0
	s_cbranch_execz .LBB8_1020
; %bb.1019:
	s_bcnt1_i32_b32 s10, s10
	v_mov_b32_e32 v1, 0
	v_mov_b32_e32 v0, s10
	ds_add_u64 v0, v[0:1]
	s_trap 2
.LBB8_1020:
	s_or_b32 exec_lo, exec_lo, s7
	s_trap 2
	ds_read_b64 v[2:3], v0
	s_waitcnt lgkmcnt(0)
	buffer_gl0_inv
	v_lshrrev_b32_e32 v0, 5, v30
	s_mov_b32 s7, exec_lo
	v_add_co_u32 v0, vcc_lo, v24, v0
	v_add_co_ci_u32_e64 v1, null, 0, v25, vcc_lo
	v_cmpx_lt_u64_e64 v[2:3], v[0:1]
	s_cbranch_execz .LBB8_1029
; %bb.1021:
	s_mov_b32 s10, 0
	s_mov_b32 s13, 0
                                        ; implicit-def: $sgpr11
                                        ; implicit-def: $sgpr12
	s_inst_prefetch 0x1
	s_branch .LBB8_1023
	.p2align	6
.LBB8_1022:                             ;   in Loop: Header=BB8_1023 Depth=1
	s_or_b32 exec_lo, exec_lo, s15
	s_and_b32 s14, exec_lo, s16
	s_or_b32 s10, s14, s10
	s_andn2_b32 s11, s11, exec_lo
	s_and_b32 s14, s12, exec_lo
	s_or_b32 s11, s11, s14
	s_andn2_b32 exec_lo, exec_lo, s10
	s_cbranch_execz .LBB8_1027
.LBB8_1023:                             ; =>This Inner Loop Header: Depth=1
	s_add_i32 s13, s13, 1
	s_cmpk_lg_i32 s13, 0x2710
	s_cselect_b32 s14, -1, 0
	s_and_b32 vcc_lo, exec_lo, s14
	s_cbranch_vccz .LBB8_1025
; %bb.1024:                             ;   in Loop: Header=BB8_1023 Depth=1
	s_mov_b32 s16, -1
	s_or_b32 s12, s12, exec_lo
	s_and_saveexec_b32 s15, s14
	s_cbranch_execz .LBB8_1022
	s_branch .LBB8_1026
.LBB8_1025:                             ;   in Loop: Header=BB8_1023 Depth=1
	s_trap 2
	ds_read_b64 v[2:3], v0
	s_andn2_b32 s14, s14, exec_lo
	s_mov_b32 s13, 0
	s_waitcnt lgkmcnt(0)
	flat_load_dword v2, v[2:3] glc dlc
	s_waitcnt vmcnt(0) lgkmcnt(0)
	buffer_gl1_inv
	buffer_gl0_inv
	v_cmp_eq_u32_e32 vcc_lo, 0, v2
	s_and_b32 s15, vcc_lo, exec_lo
	s_or_b32 s14, s14, s15
	s_mov_b32 s16, -1
	s_or_b32 s12, s12, exec_lo
	s_and_saveexec_b32 s15, s14
	s_cbranch_execz .LBB8_1022
.LBB8_1026:                             ;   in Loop: Header=BB8_1023 Depth=1
	s_sleep 1
	s_trap 2
	ds_read_b64 v[2:3], v0
	s_waitcnt lgkmcnt(0)
	buffer_gl0_inv
	s_andn2_b32 s12, s12, exec_lo
	v_cmp_ge_u64_e32 vcc_lo, v[2:3], v[0:1]
	s_orn2_b32 s16, vcc_lo, exec_lo
	s_branch .LBB8_1022
.LBB8_1027:
	s_inst_prefetch 0x2
	s_or_b32 exec_lo, exec_lo, s10
	s_and_saveexec_b32 s10, s11
	s_xor_b32 s10, exec_lo, s10
	s_cbranch_execz .LBB8_1029
; %bb.1028:
	v_mov_b32_e32 v0, 1
	ds_write_b32 v0, v0
	s_trap 2
.LBB8_1029:
	s_or_b32 exec_lo, exec_lo, s7
	;;#ASMSTART
	s_wakeup
	;;#ASMEND
.LBB8_1030:
	s_or_b32 exec_lo, exec_lo, s6
.LBB8_1031:
	s_andn2_saveexec_b32 s4, s4
	s_cbranch_execz .LBB8_1033
; %bb.1032:
	s_waitcnt lgkmcnt(0)
	s_waitcnt_vscnt null, 0x0
	buffer_gl1_inv
	buffer_gl0_inv
	s_barrier
.LBB8_1033:
	s_or_b32 exec_lo, exec_lo, s5
.LBB8_1034:
	s_andn2_saveexec_b32 s26, s24
	s_cbranch_execz .LBB8_1036
; %bb.1035:
	s_getpc_b64 s[4:5]
	s_add_u32 s4, s4, __PRETTY_FUNCTION__._ZN10PrimitivesIa7FuncSumIaE12FanSymmetricILi1EELi0E11ProtoSimpleILi1ELi1ELi0ELi2ELi0ELi0EELi0ELb0ELi0ELi0ELi0EEC2EiiPKiS8_PKvPvmhhhP15ncclDevWorkCollP14ncclDevWorkP2pii@rel32@lo+4
	s_addc_u32 s5, s5, __PRETTY_FUNCTION__._ZN10PrimitivesIa7FuncSumIaE12FanSymmetricILi1EELi0E11ProtoSimpleILi1ELi1ELi0ELi2ELi0ELi0EELi0ELb0ELi0ELi0ELi0EEC2EiiPKiS8_PKvPvmhhhP15ncclDevWorkCollP14ncclDevWorkP2pii@rel32@hi+12
	v_mov_b32_e32 v0, s4
	v_mov_b32_e32 v1, s5
	s_getpc_b64 s[6:7]
	s_add_u32 s6, s6, __assert_fail@rel32@lo+4
	s_addc_u32 s7, s7, __assert_fail@rel32@hi+12
	s_swappc_b64 s[30:31], s[6:7]
	; divergent unreachable
.LBB8_1036:
	s_or_b32 exec_lo, exec_lo, s26
.LBB8_1037:
	s_or_b32 exec_lo, exec_lo, s25
	s_clause 0x19
	buffer_load_dword v89, off, s[0:3], s33
	buffer_load_dword v88, off, s[0:3], s33 offset:4
	buffer_load_dword v79, off, s[0:3], s33 offset:8
	;; [unrolled: 1-line block ×25, first 2 shown]
	v_readlane_b32 s30, v90, 0
	v_readlane_b32 s31, v90, 1
	s_mov_b32 s32, s33
	s_or_saveexec_b32 s4, -1
	buffer_load_dword v90, off, s[0:3], s33 offset:104 ; 4-byte Folded Reload
	s_mov_b32 exec_lo, s4
	s_mov_b32 s33, s72
	s_waitcnt vmcnt(0) lgkmcnt(0)
	s_setpc_b64 s[30:31]
.Lfunc_end8:
	.size	_ZN12_GLOBAL__N_17runRingIa7FuncSumIaE11ProtoSimpleILi1ELi1ELi0ELi2ELi0ELi0EELi0ELi2ELi0EEEviiP15ncclDevWorkColl, .Lfunc_end8-_ZN12_GLOBAL__N_17runRingIa7FuncSumIaE11ProtoSimpleILi1ELi1ELi0ELi2ELi0ELi0EELi0ELi2ELi0EEEviiP15ncclDevWorkColl
                                        ; -- End function
	.set .L_ZN12_GLOBAL__N_17runRingIa7FuncSumIaE11ProtoSimpleILi1ELi1ELi0ELi2ELi0ELi0EELi0ELi2ELi0EEEviiP15ncclDevWorkColl.num_vgpr, max(120, .L__assert_fail.num_vgpr)
	.set .L_ZN12_GLOBAL__N_17runRingIa7FuncSumIaE11ProtoSimpleILi1ELi1ELi0ELi2ELi0ELi0EELi0ELi2ELi0EEEviiP15ncclDevWorkColl.num_agpr, max(0, .L__assert_fail.num_agpr)
	.set .L_ZN12_GLOBAL__N_17runRingIa7FuncSumIaE11ProtoSimpleILi1ELi1ELi0ELi2ELi0ELi0EELi0ELi2ELi0EEEviiP15ncclDevWorkColl.numbered_sgpr, max(73, .L__assert_fail.numbered_sgpr)
	.set .L_ZN12_GLOBAL__N_17runRingIa7FuncSumIaE11ProtoSimpleILi1ELi1ELi0ELi2ELi0ELi0EELi0ELi2ELi0EEEviiP15ncclDevWorkColl.num_named_barrier, max(0, .L__assert_fail.num_named_barrier)
	.set .L_ZN12_GLOBAL__N_17runRingIa7FuncSumIaE11ProtoSimpleILi1ELi1ELi0ELi2ELi0ELi0EELi0ELi2ELi0EEEviiP15ncclDevWorkColl.private_seg_size, 112+max(.L__assert_fail.private_seg_size)
	.set .L_ZN12_GLOBAL__N_17runRingIa7FuncSumIaE11ProtoSimpleILi1ELi1ELi0ELi2ELi0ELi0EELi0ELi2ELi0EEEviiP15ncclDevWorkColl.uses_vcc, or(1, .L__assert_fail.uses_vcc)
	.set .L_ZN12_GLOBAL__N_17runRingIa7FuncSumIaE11ProtoSimpleILi1ELi1ELi0ELi2ELi0ELi0EELi0ELi2ELi0EEEviiP15ncclDevWorkColl.uses_flat_scratch, or(1, .L__assert_fail.uses_flat_scratch)
	.set .L_ZN12_GLOBAL__N_17runRingIa7FuncSumIaE11ProtoSimpleILi1ELi1ELi0ELi2ELi0ELi0EELi0ELi2ELi0EEEviiP15ncclDevWorkColl.has_dyn_sized_stack, or(0, .L__assert_fail.has_dyn_sized_stack)
	.set .L_ZN12_GLOBAL__N_17runRingIa7FuncSumIaE11ProtoSimpleILi1ELi1ELi0ELi2ELi0ELi0EELi0ELi2ELi0EEEviiP15ncclDevWorkColl.has_recursion, or(1, .L__assert_fail.has_recursion)
	.set .L_ZN12_GLOBAL__N_17runRingIa7FuncSumIaE11ProtoSimpleILi1ELi1ELi0ELi2ELi0ELi0EELi0ELi2ELi0EEEviiP15ncclDevWorkColl.has_indirect_call, or(0, .L__assert_fail.has_indirect_call)
	.section	.AMDGPU.csdata,"",@progbits
; Function info:
; codeLenInByte = 38324
; TotalNumSgprs: 75
; NumVgprs: 120
; ScratchSize: 176
; MemoryBound: 1
	.text
	.p2align	2                               ; -- Begin function _Z46ncclDevFunc_Broadcast_RING_SIMPLE_Sum_i8_0_0_2v
	.type	_Z46ncclDevFunc_Broadcast_RING_SIMPLE_Sum_i8_0_0_2v,@function
_Z46ncclDevFunc_Broadcast_RING_SIMPLE_Sum_i8_0_0_2v: ; @_Z46ncclDevFunc_Broadcast_RING_SIMPLE_Sum_i8_0_0_2v
; %bb.0:
	s_waitcnt vmcnt(0) expcnt(0) lgkmcnt(0)
	s_mov_b32 s78, s33
	s_mov_b32 s33, s32
	s_or_saveexec_b32 s4, -1
	buffer_store_dword v43, off, s[0:3], s33 offset:16 ; 4-byte Folded Spill
	s_mov_b32 exec_lo, s4
	s_addk_i32 s32, 0x400
	buffer_store_dword v40, off, s[0:3], s33 offset:12 ; 4-byte Folded Spill
	buffer_store_dword v41, off, s[0:3], s33 offset:8 ; 4-byte Folded Spill
	;; [unrolled: 1-line block ×3, first 2 shown]
	buffer_store_dword v90, off, s[0:3], s33 ; 4-byte Folded Spill
	v_writelane_b32 v43, s30, 0
	v_writelane_b32 v43, s31, 1
	s_trap 2
	ds_read_b32 v0, v0
	v_mov_b32_e32 v40, v31
	s_waitcnt lgkmcnt(0)
	v_cmp_gt_i32_e32 vcc_lo, 1, v0
	s_cbranch_vccnz .LBB9_8
; %bb.1:
	v_and_b32_e32 v41, 0x3ff, v40
	v_mov_b32_e32 v42, 5
	s_mov_b32 s73, s12
	s_mov_b64 s[74:75], s[8:9]
	s_mov_b32 s76, 0
	s_inst_prefetch 0x1
	s_branch .LBB9_3
	.p2align	6
.LBB9_2:                                ;   in Loop: Header=BB9_3 Depth=1
	s_or_b32 exec_lo, exec_lo, s77
	s_trap 2
	ds_read_b32 v0, v0
	s_add_i32 s76, s76, 1
	s_waitcnt lgkmcnt(0)
	v_cmp_lt_i32_e32 vcc_lo, s76, v0
	s_cbranch_vccz .LBB9_8
.LBB9_3:                                ; =>This Inner Loop Header: Depth=1
	s_trap 2
	ds_read_b32 v0, v0
	s_cmp_eq_u32 s76, 0
	s_cbranch_scc1 .LBB9_6
; %bb.4:                                ;   in Loop: Header=BB9_3 Depth=1
	s_trap 2
	s_waitcnt lgkmcnt(0)
	ds_read_b32 v1, v0
	s_waitcnt lgkmcnt(0)
	v_xor_b32_e32 v1, v1, v0
	v_and_b32_e32 v1, 0xff0000, v1
	v_cmp_eq_u32_e32 vcc_lo, 0, v1
	s_cbranch_vccnz .LBB9_6
; %bb.5:                                ;   in Loop: Header=BB9_3 Depth=1
	s_waitcnt_vscnt null, 0x0
	s_barrier
	buffer_gl0_inv
	ds_read_b32 v0, v0
.LBB9_6:                                ;   in Loop: Header=BB9_3 Depth=1
	s_waitcnt lgkmcnt(0)
	v_lshlrev_b32_sdwa v1, v42, v0 dst_sel:DWORD dst_unused:UNUSED_PAD src0_sel:DWORD src1_sel:BYTE_2
	s_mov_b32 s77, exec_lo
	v_cmpx_lt_u32_e64 v41, v1
	s_cbranch_execz .LBB9_2
; %bb.7:                                ;   in Loop: Header=BB9_3 Depth=1
	s_mov_b64 s[4:5], src_shared_base
	v_mov_b32_e32 v31, v40
	v_mov_b32_e32 v0, v41
	;; [unrolled: 1-line block ×3, first 2 shown]
	s_getpc_b64 s[6:7]
	s_add_u32 s6, s6, _ZN12_GLOBAL__N_17runRingIa7FuncSumIaE11ProtoSimpleILi1ELi1ELi0ELi2ELi0ELi0EELi0ELi2ELi0EEEviiP15ncclDevWorkColl@rel32@lo+4
	s_addc_u32 s7, s7, _ZN12_GLOBAL__N_17runRingIa7FuncSumIaE11ProtoSimpleILi1ELi1ELi0ELi2ELi0ELi0EELi0ELi2ELi0EEEviiP15ncclDevWorkColl@rel32@hi+12
	s_mov_b64 s[8:9], s[74:75]
	s_mov_b32 s12, s73
	s_swappc_b64 s[30:31], s[6:7]
	s_branch .LBB9_2
.LBB9_8:
	s_inst_prefetch 0x2
	s_clause 0x3
	buffer_load_dword v90, off, s[0:3], s33
	buffer_load_dword v42, off, s[0:3], s33 offset:4
	buffer_load_dword v41, off, s[0:3], s33 offset:8
	;; [unrolled: 1-line block ×3, first 2 shown]
	v_readlane_b32 s30, v43, 0
	v_readlane_b32 s31, v43, 1
	s_mov_b32 s32, s33
	s_or_saveexec_b32 s4, -1
	buffer_load_dword v43, off, s[0:3], s33 offset:16 ; 4-byte Folded Reload
	s_mov_b32 exec_lo, s4
	s_mov_b32 s33, s78
	s_waitcnt vmcnt(0)
	s_setpc_b64 s[30:31]
.Lfunc_end9:
	.size	_Z46ncclDevFunc_Broadcast_RING_SIMPLE_Sum_i8_0_0_2v, .Lfunc_end9-_Z46ncclDevFunc_Broadcast_RING_SIMPLE_Sum_i8_0_0_2v
                                        ; -- End function
	.set .L_Z46ncclDevFunc_Broadcast_RING_SIMPLE_Sum_i8_0_0_2v.num_vgpr, max(91, .L_ZN12_GLOBAL__N_17runRingIa7FuncSumIaE11ProtoSimpleILi1ELi1ELi0ELi2ELi0ELi0EELi0ELi2ELi0EEEviiP15ncclDevWorkColl.num_vgpr)
	.set .L_Z46ncclDevFunc_Broadcast_RING_SIMPLE_Sum_i8_0_0_2v.num_agpr, max(0, .L_ZN12_GLOBAL__N_17runRingIa7FuncSumIaE11ProtoSimpleILi1ELi1ELi0ELi2ELi0ELi0EELi0ELi2ELi0EEEviiP15ncclDevWorkColl.num_agpr)
	.set .L_Z46ncclDevFunc_Broadcast_RING_SIMPLE_Sum_i8_0_0_2v.numbered_sgpr, max(79, .L_ZN12_GLOBAL__N_17runRingIa7FuncSumIaE11ProtoSimpleILi1ELi1ELi0ELi2ELi0ELi0EELi0ELi2ELi0EEEviiP15ncclDevWorkColl.numbered_sgpr)
	.set .L_Z46ncclDevFunc_Broadcast_RING_SIMPLE_Sum_i8_0_0_2v.num_named_barrier, max(0, .L_ZN12_GLOBAL__N_17runRingIa7FuncSumIaE11ProtoSimpleILi1ELi1ELi0ELi2ELi0ELi0EELi0ELi2ELi0EEEviiP15ncclDevWorkColl.num_named_barrier)
	.set .L_Z46ncclDevFunc_Broadcast_RING_SIMPLE_Sum_i8_0_0_2v.private_seg_size, 32+max(.L_ZN12_GLOBAL__N_17runRingIa7FuncSumIaE11ProtoSimpleILi1ELi1ELi0ELi2ELi0ELi0EELi0ELi2ELi0EEEviiP15ncclDevWorkColl.private_seg_size)
	.set .L_Z46ncclDevFunc_Broadcast_RING_SIMPLE_Sum_i8_0_0_2v.uses_vcc, or(1, .L_ZN12_GLOBAL__N_17runRingIa7FuncSumIaE11ProtoSimpleILi1ELi1ELi0ELi2ELi0ELi0EELi0ELi2ELi0EEEviiP15ncclDevWorkColl.uses_vcc)
	.set .L_Z46ncclDevFunc_Broadcast_RING_SIMPLE_Sum_i8_0_0_2v.uses_flat_scratch, or(0, .L_ZN12_GLOBAL__N_17runRingIa7FuncSumIaE11ProtoSimpleILi1ELi1ELi0ELi2ELi0ELi0EELi0ELi2ELi0EEEviiP15ncclDevWorkColl.uses_flat_scratch)
	.set .L_Z46ncclDevFunc_Broadcast_RING_SIMPLE_Sum_i8_0_0_2v.has_dyn_sized_stack, or(0, .L_ZN12_GLOBAL__N_17runRingIa7FuncSumIaE11ProtoSimpleILi1ELi1ELi0ELi2ELi0ELi0EELi0ELi2ELi0EEEviiP15ncclDevWorkColl.has_dyn_sized_stack)
	.set .L_Z46ncclDevFunc_Broadcast_RING_SIMPLE_Sum_i8_0_0_2v.has_recursion, or(1, .L_ZN12_GLOBAL__N_17runRingIa7FuncSumIaE11ProtoSimpleILi1ELi1ELi0ELi2ELi0ELi0EELi0ELi2ELi0EEEviiP15ncclDevWorkColl.has_recursion)
	.set .L_Z46ncclDevFunc_Broadcast_RING_SIMPLE_Sum_i8_0_0_2v.has_indirect_call, or(0, .L_ZN12_GLOBAL__N_17runRingIa7FuncSumIaE11ProtoSimpleILi1ELi1ELi0ELi2ELi0ELi0EELi0ELi2ELi0EEEviiP15ncclDevWorkColl.has_indirect_call)
	.section	.AMDGPU.csdata,"",@progbits
; Function info:
; codeLenInByte = 476
; TotalNumSgprs: 81
; NumVgprs: 120
; ScratchSize: 208
; MemoryBound: 0
	.text
	.p2align	2                               ; -- Begin function _ZN12_GLOBAL__N_17runRingIa7FuncSumIaE7ProtoLLLi0ELi4ELi0EEEviiP15ncclDevWorkColl
	.type	_ZN12_GLOBAL__N_17runRingIa7FuncSumIaE7ProtoLLLi0ELi4ELi0EEEviiP15ncclDevWorkColl,@function
_ZN12_GLOBAL__N_17runRingIa7FuncSumIaE7ProtoLLLi0ELi4ELi0EEEviiP15ncclDevWorkColl: ; @_ZN12_GLOBAL__N_17runRingIa7FuncSumIaE7ProtoLLLi0ELi4ELi0EEEviiP15ncclDevWorkColl
; %bb.0:
	s_waitcnt vmcnt(0) expcnt(0) lgkmcnt(0)
	s_trap 2
	ds_read_b64 v[4:5], v0
	s_clause 0x1
	flat_load_dwordx2 v[16:17], v[2:3]
	flat_load_ushort v9, v[2:3] offset:8
	ds_read_b32 v6, v0
                                        ; implicit-def: $vgpr38_vgpr39
                                        ; implicit-def: $vgpr14_vgpr15
	s_waitcnt lgkmcnt(3)
	flat_load_dwordx2 v[48:49], v[4:5]
                                        ; implicit-def: $vgpr4_vgpr5
	s_waitcnt vmcnt(2) lgkmcnt(3)
	v_mov_b32_e32 v8, v17
	s_waitcnt lgkmcnt(1)
	v_cmp_ne_u32_sdwa s4, v6, v16 src0_sel:DWORD src1_sel:BYTE_0
	s_and_saveexec_b32 s5, s4
	s_xor_b32 s4, exec_lo, s5
	s_cbranch_execz .LBB10_6
; %bb.1:
	v_not_b32_sdwa v10, v16 dst_sel:DWORD dst_unused:UNUSED_PAD src0_sel:BYTE_0
	v_cmp_ne_u32_sdwa s5, v6, v16 src0_sel:DWORD src1_sel:BYTE_1
                                        ; implicit-def: $vgpr38_vgpr39
                                        ; implicit-def: $vgpr4_vgpr5
                                        ; implicit-def: $vgpr14_vgpr15
	s_and_saveexec_b32 s6, s5
	s_xor_b32 s5, exec_lo, s6
	s_cbranch_execz .LBB10_3
; %bb.2:
	s_clause 0x1
	flat_load_dwordx4 v[17:20], v[2:3] offset:72
	flat_load_dwordx2 v[4:5], v[2:3] offset:96
	v_add_nc_u32_e32 v6, v6, v10
                                        ; implicit-def: $vgpr10
	v_ashrrev_i32_e32 v7, 31, v6
	s_waitcnt vmcnt(1) lgkmcnt(1)
	v_mul_lo_u32 v7, v19, v7
	v_mad_u64_u32 v[14:15], null, v19, v6, v[17:18]
	v_mul_lo_u32 v6, v20, v6
	s_waitcnt vmcnt(0) lgkmcnt(0)
	v_lshrrev_b64 v[38:39], 21, v[4:5]
	v_mov_b32_e32 v4, v19
	v_mov_b32_e32 v5, v20
	v_add3_u32 v15, v6, v15, v7
.LBB10_3:
	s_andn2_saveexec_b32 s5, s5
	s_cbranch_execz .LBB10_5
; %bb.4:
	s_clause 0x1
	flat_load_dwordx4 v[17:20], v[2:3] offset:72
	flat_load_dwordx4 v[4:7], v[2:3] offset:88
	s_waitcnt vmcnt(0) lgkmcnt(0)
	v_add_nc_u32_sdwa v6, v16, v10 dst_sel:DWORD dst_unused:UNUSED_PAD src0_sel:BYTE_1 src1_sel:DWORD
	v_ashrrev_i32_e32 v10, 31, v6
	v_mul_lo_u32 v10, v19, v10
	v_mad_u64_u32 v[14:15], null, v19, v6, v[17:18]
	v_mul_lo_u32 v6, v20, v6
	v_lshrrev_b32_e32 v38, 10, v7
	v_add3_u32 v15, v6, v15, v10
.LBB10_5:
	s_or_b32 exec_lo, exec_lo, s5
.LBB10_6:
	s_andn2_saveexec_b32 s4, s4
	s_cbranch_execz .LBB10_8
; %bb.7:
	s_clause 0x1
	flat_load_dwordx2 v[4:5], v[2:3] offset:72
	flat_load_dwordx2 v[38:39], v[2:3] offset:96
	v_mov_b32_e32 v14, 0
	v_mov_b32_e32 v15, 0
.LBB10_8:
	s_or_b32 exec_lo, exec_lo, s4
	flat_load_dwordx4 v[10:13], v[2:3] offset:16
	v_and_b32_e32 v2, 0x44000000, v16
	v_bfe_u32 v3, v8, 1, 30
	s_mov_b32 s4, exec_lo
	v_cmp_eq_u32_e64 s13, 0x44000000, v2
	v_cndmask_b32_e64 v2, v1, 32, s13
	v_cmpx_ge_i32_e64 v0, v2
	s_xor_b32 s5, exec_lo, s4
	s_cbranch_execnz .LBB10_11
; %bb.9:
	s_andn2_saveexec_b32 s15, s5
	s_cbranch_execnz .LBB10_40
.LBB10_10:
	s_or_b32 exec_lo, exec_lo, s15
	s_waitcnt vmcnt(0) lgkmcnt(0)
	s_setpc_b64 s[30:31]
.LBB10_11:
	s_waitcnt vmcnt(0) lgkmcnt(0)
	v_cmp_ne_u64_e32 vcc_lo, v[12:13], v[10:11]
	v_cmp_eq_u32_e64 s4, v48, v3
	s_and_b32 s4, vcc_lo, s4
	s_and_saveexec_b32 s6, s4
	s_cbranch_execz .LBB10_39
; %bb.12:
	v_sub_nc_u32_e32 v16, v0, v2
	v_add_co_u32 v6, vcc_lo, v12, v14
	v_add_co_ci_u32_e64 v7, null, v13, v15, vcc_lo
	v_ashrrev_i16 v0, 15, v16
	v_add_co_u32 v8, vcc_lo, v10, v14
	v_add_co_ci_u32_e64 v9, null, v11, v15, vcc_lo
	v_lshrrev_b16 v0, 11, v0
	s_mov_b32 s4, 0
	s_mov_b32 s7, exec_lo
	v_add_nc_u16 v0, v16, v0
	v_and_b32_e32 v3, 0xffffffe0, v0
	v_sub_nc_u16 v19, v16, v3
	v_cmpx_gt_i16_e32 1, v19
; %bb.13:
	v_or_b32_e32 v3, v6, v8
	v_and_b32_e32 v3, 15, v3
	v_cmp_ne_u32_e32 vcc_lo, 0, v3
	s_and_b32 s4, vcc_lo, exec_lo
; %bb.14:
	s_or_b32 exec_lo, exec_lo, s7
	v_cndmask_b32_e64 v3, 0, 1, s4
	v_sub_nc_u32_e32 v18, v1, v2
	v_cmp_ne_u32_e32 vcc_lo, 0, v3
	s_cbranch_vccz .LBB10_16
; %bb.15:
	v_mov_b32_e32 v0, 0
	v_mov_b32_e32 v1, 0
	s_mov_b32 s4, -1
	s_and_b32 exec_lo, exec_lo, s4
	s_cbranch_execnz .LBB10_31
	s_branch .LBB10_39
.LBB10_16:
	v_ashrrev_i32_e32 v1, 31, v5
	v_ashrrev_i16 v2, 5, v0
	s_mov_b32 s10, 0
	s_mov_b32 s7, exec_lo
	v_lshrrev_b32_e32 v1, 20, v1
	v_bfe_i32 v16, v2, 0, 16
	v_add_co_u32 v0, vcc_lo, v4, v1
	v_add_co_ci_u32_e64 v1, null, 0, v5, vcc_lo
	v_ashrrev_i32_e32 v3, 31, v16
	v_ashrrev_i64 v[0:1], 12, v[0:1]
	v_sub_co_u32 v2, vcc_lo, v0, v16
	v_sub_co_ci_u32_e64 v3, null, v1, v3, vcc_lo
	v_cmpx_lt_i64_e32 0, v[2:3]
	s_cbranch_execz .LBB10_20
; %bb.17:
	v_ashrrev_i16 v17, 15, v18
	v_mov_b32_e32 v20, 4
	v_mov_b32_e32 v22, 12
	v_lshrrev_b16 v17, 11, v17
	v_lshlrev_b32_sdwa v20, v20, sext(v19) dst_sel:DWORD dst_unused:UNUSED_PAD src0_sel:DWORD src1_sel:WORD_0
	v_add_nc_u16 v17, v18, v17
	v_lshl_add_u32 v16, v16, 12, v20
	v_ashrrev_i16 v21, 5, v17
	v_bfe_i32 v17, v21, 0, 16
	v_lshlrev_b32_sdwa v20, v22, sext(v21) dst_sel:DWORD dst_unused:UNUSED_PAD src0_sel:DWORD src1_sel:WORD_0
	v_ashrrev_i32_e32 v21, 31, v16
	v_ashrrev_i32_e32 v22, 31, v17
	;; [unrolled: 1-line block ×3, first 2 shown]
.LBB10_18:                              ; =>This Inner Loop Header: Depth=1
	v_add_co_u32 v36, vcc_lo, v16, v6
	v_add_co_ci_u32_e64 v37, null, v21, v7, vcc_lo
	v_add_co_u32 v68, vcc_lo, 0x800, v36
	v_add_co_ci_u32_e64 v69, null, 0, v37, vcc_lo
	s_clause 0x3
	global_load_dwordx4 v[24:27], v[36:37], off slc
	global_load_dwordx4 v[28:31], v[36:37], off offset:512 slc
	global_load_dwordx4 v[32:35], v[36:37], off offset:1024 slc
	;; [unrolled: 1-line block ×3, first 2 shown]
	s_clause 0x3
	global_load_dwordx4 v[48:51], v[68:69], off slc
	global_load_dwordx4 v[52:55], v[68:69], off offset:512 slc
	global_load_dwordx4 v[64:67], v[68:69], off offset:1024 slc
	;; [unrolled: 1-line block ×3, first 2 shown]
	v_add_co_u32 v80, vcc_lo, v16, v8
	v_add_co_ci_u32_e64 v81, null, v21, v9, vcc_lo
	v_sub_co_u32 v2, vcc_lo, v2, v17
	v_sub_co_ci_u32_e64 v3, null, v3, v22, vcc_lo
	v_add_co_u32 v6, vcc_lo, v6, v20
	v_add_co_ci_u32_e64 v7, null, v7, v23, vcc_lo
	v_add_co_u32 v8, vcc_lo, v8, v20
	v_add_co_ci_u32_e64 v9, null, v9, v23, vcc_lo
	v_cmp_gt_i64_e32 vcc_lo, 1, v[2:3]
	v_add_co_u32 v82, s4, 0x800, v80
	v_add_co_ci_u32_e64 v83, null, 0, v81, s4
	s_waitcnt vmcnt(7)
	global_store_dwordx4 v[80:81], v[24:27], off glc slc
	s_waitcnt vmcnt(6)
	global_store_dwordx4 v[80:81], v[28:31], off offset:512 glc slc
	s_waitcnt vmcnt(5)
	global_store_dwordx4 v[80:81], v[32:35], off offset:1024 glc slc
	;; [unrolled: 2-line block ×3, first 2 shown]
	s_waitcnt vmcnt(3)
	global_store_dwordx4 v[82:83], v[48:51], off glc slc
	s_waitcnt vmcnt(2)
	global_store_dwordx4 v[82:83], v[52:55], off offset:512 glc slc
	s_waitcnt vmcnt(1)
	global_store_dwordx4 v[82:83], v[64:67], off offset:1024 glc slc
	;; [unrolled: 2-line block ×3, first 2 shown]
	s_or_b32 s10, vcc_lo, s10
	s_andn2_b32 exec_lo, exec_lo, s10
	s_cbranch_execnz .LBB10_18
; %bb.19:
	s_or_b32 exec_lo, exec_lo, s10
.LBB10_20:
	s_or_b32 exec_lo, exec_lo, s7
	v_lshlrev_b64 v[8:9], 12, v[0:1]
	v_mov_b32_e32 v0, 0
	v_mov_b32_e32 v1, 0
	s_mov_b32 s4, 0
	s_mov_b32 s7, exec_lo
                                        ; implicit-def: $vgpr6_vgpr7
                                        ; implicit-def: $vgpr16
	v_cmpx_ne_u64_e64 v[4:5], v[8:9]
	s_cbranch_execz .LBB10_30
; %bb.21:
	v_sub_co_u32 v3, vcc_lo, v4, v8
	v_sub_co_ci_u32_e64 v20, null, v5, v9, vcc_lo
	v_mov_b32_e32 v5, 0
	v_ashrrev_i32_e32 v0, 31, v20
	v_lshrrev_b32_e32 v0, 23, v0
	v_add_co_u32 v0, vcc_lo, v3, v0
	v_add_co_ci_u32_e64 v1, null, 0, v20, vcc_lo
	v_and_b32_e32 v21, 0xfffffe00, v0
	v_ashrrev_i64 v[16:17], 9, v[0:1]
	v_sub_co_u32 v6, vcc_lo, v3, v21
	v_add_co_u32 v0, s4, v21, v8
	v_sub_co_ci_u32_e64 v7, null, v20, v1, vcc_lo
	v_add_co_ci_u32_e64 v1, null, v1, v9, s4
	s_mov_b32 s4, exec_lo
	v_cmpx_lt_i64_e32 15, v[6:7]
	s_cbranch_execz .LBB10_23
; %bb.22:
	v_and_b32_e32 v4, 15, v4
	v_sub_co_u32 v6, vcc_lo, v6, v4
	v_subrev_co_ci_u32_e64 v7, null, 0, v7, vcc_lo
	v_add_co_u32 v16, vcc_lo, v16, 1
	v_add_co_ci_u32_e64 v17, null, 0, v17, vcc_lo
	v_add_co_u32 v0, vcc_lo, v6, v0
	v_add_co_ci_u32_e64 v1, null, v7, v1, vcc_lo
	v_mov_b32_e32 v7, v5
	v_mov_b32_e32 v6, v4
.LBB10_23:
	s_or_b32 exec_lo, exec_lo, s4
	v_lshlrev_b32_e32 v2, 5, v2
	s_mov_b32 s10, exec_lo
	v_sub_nc_u32_sdwa v2, sext(v19), v2 dst_sel:DWORD dst_unused:UNUSED_PAD src0_sel:WORD_0 src1_sel:DWORD
	v_ashrrev_i32_e32 v4, 31, v2
	v_lshrrev_b32_e32 v4, 27, v4
	v_add_nc_u32_e32 v4, v2, v4
	v_and_b32_e32 v5, 0xffffffe0, v4
	v_sub_nc_u32_e32 v19, v2, v5
	v_ashrrev_i32_e32 v2, 5, v4
	v_lshlrev_b32_e32 v4, 4, v19
	v_lshl_add_u32 v21, v2, 9, v4
	v_ashrrev_i32_e32 v22, 31, v21
	v_sub_co_u32 v4, vcc_lo, v3, v21
	v_ashrrev_i32_e32 v3, 31, v2
	v_sub_co_u32 v2, s4, v16, v2
	v_sub_co_ci_u32_e64 v5, null, v20, v22, vcc_lo
	v_sub_co_ci_u32_e64 v3, null, v17, v3, s4
	v_cmpx_lt_i64_e32 15, v[4:5]
	s_cbranch_execz .LBB10_27
; %bb.24:
	v_ashrrev_i16 v16, 15, v18
	v_mov_b32_e32 v20, 9
	s_mov_b32 s11, 0
	v_lshrrev_b16 v16, 11, v16
	v_add_nc_u16 v16, v18, v16
	v_ashrrev_i16 v17, 5, v16
	v_bfe_i32 v16, v17, 0, 16
	v_lshlrev_b32_sdwa v17, v20, sext(v17) dst_sel:DWORD dst_unused:UNUSED_PAD src0_sel:DWORD src1_sel:WORD_0
	v_add_co_u32 v20, vcc_lo, v14, v8
	v_add_co_ci_u32_e64 v23, null, v15, v9, vcc_lo
	v_ashrrev_i32_e32 v8, 31, v17
	v_add_co_u32 v20, vcc_lo, v20, v21
	v_ashrrev_i32_e32 v9, 31, v16
	v_add_co_ci_u32_e64 v21, null, v23, v22, vcc_lo
	.p2align	6
.LBB10_25:                              ; =>This Inner Loop Header: Depth=1
	v_add_co_u32 v22, vcc_lo, v12, v20
	v_add_co_ci_u32_e64 v23, null, v13, v21, vcc_lo
	v_add_co_u32 v26, vcc_lo, v10, v20
	v_add_co_ci_u32_e64 v27, null, v11, v21, vcc_lo
	global_load_dwordx4 v[22:25], v[22:23], off slc
	v_sub_co_u32 v4, vcc_lo, v4, v17
	v_sub_co_ci_u32_e64 v5, null, v5, v8, vcc_lo
	v_sub_co_u32 v2, vcc_lo, v2, v16
	v_sub_co_ci_u32_e64 v3, null, v3, v9, vcc_lo
	v_cmp_gt_i64_e32 vcc_lo, 16, v[4:5]
	v_add_co_u32 v20, s4, v20, v17
	v_add_co_ci_u32_e64 v21, null, v21, v8, s4
	s_or_b32 s11, vcc_lo, s11
	s_waitcnt vmcnt(0)
	global_store_dwordx4 v[26:27], v[22:25], off glc slc
	s_andn2_b32 exec_lo, exec_lo, s11
	s_cbranch_execnz .LBB10_25
; %bb.26:
	s_or_b32 exec_lo, exec_lo, s11
.LBB10_27:
	s_or_b32 exec_lo, exec_lo, s10
	s_mov_b32 s4, exec_lo
	v_cmpx_lt_i64_e32 0, v[2:3]
	s_cbranch_execz .LBB10_29
; %bb.28:
	v_ashrrev_i16 v4, 15, v18
	v_lshrrev_b16 v4, 11, v4
	v_add_nc_u16 v4, v18, v4
	v_ashrrev_i16 v4, 5, v4
	v_bfe_i32 v4, v4, 0, 16
	v_ashrrev_i32_e32 v5, 31, v4
	v_sub_co_u32 v2, vcc_lo, v2, v4
	v_sub_co_ci_u32_e64 v3, null, v3, v5, vcc_lo
.LBB10_29:
	s_or_b32 exec_lo, exec_lo, s4
	v_lshlrev_b32_e32 v2, 5, v2
	v_cmp_ne_u64_e32 vcc_lo, 0, v[6:7]
	v_sub_nc_u32_e32 v16, v19, v2
	s_and_b32 s4, vcc_lo, exec_lo
.LBB10_30:
	s_or_b32 exec_lo, exec_lo, s7
	v_mov_b32_e32 v4, v6
	v_mov_b32_e32 v5, v7
	s_and_b32 exec_lo, exec_lo, s4
	s_cbranch_execz .LBB10_39
.LBB10_31:
	v_ashrrev_i32_e32 v2, 31, v16
	v_ashrrev_i32_e32 v3, 31, v5
	s_mov_b32 s4, exec_lo
	v_lshrrev_b32_e32 v2, 27, v2
	v_lshrrev_b32_e32 v3, 22, v3
	v_add_nc_u32_e32 v9, v16, v2
	v_add_co_u32 v2, vcc_lo, v4, v3
	v_add_co_ci_u32_e64 v3, null, 0, v5, vcc_lo
	v_ashrrev_i32_e32 v8, 5, v9
	v_ashrrev_i64 v[6:7], 10, v[2:3]
	v_ashrrev_i32_e32 v3, 31, v8
	v_sub_co_u32 v2, vcc_lo, v6, v8
	v_sub_co_ci_u32_e64 v3, null, v7, v3, vcc_lo
	v_cmpx_lt_i64_e32 0, v[2:3]
	s_cbranch_execz .LBB10_35
; %bb.32:
	v_ashrrev_i16 v17, 15, v18
	v_and_b32_e32 v9, 0xffffffe0, v9
	v_mov_b32_e32 v19, 10
	v_add_co_u32 v25, vcc_lo, v14, v0
	v_lshrrev_b16 v17, 11, v17
	v_sub_nc_u32_e32 v9, v16, v9
	v_add_co_ci_u32_e64 v26, null, v15, v1, vcc_lo
	s_mov_b32 s7, 0
	v_add_nc_u16 v17, v18, v17
	v_lshl_add_u32 v9, v8, 10, v9
	v_ashrrev_i16 v20, 5, v17
	v_ashrrev_i32_e32 v22, 31, v9
	v_bfe_i32 v17, v20, 0, 16
	v_lshlrev_b32_sdwa v19, v19, sext(v20) dst_sel:DWORD dst_unused:UNUSED_PAD src0_sel:DWORD src1_sel:WORD_0
	v_add_co_u32 v20, vcc_lo, v25, v12
	v_add_co_ci_u32_e64 v21, null, v26, v13, vcc_lo
	v_add_co_u32 v25, vcc_lo, v25, v10
	v_ashrrev_i32_e32 v23, 31, v17
	v_ashrrev_i32_e32 v24, 31, v19
	v_add_co_ci_u32_e64 v26, null, v26, v11, vcc_lo
.LBB10_33:                              ; =>This Inner Loop Header: Depth=1
	v_add_co_u32 v27, vcc_lo, v9, v20
	v_add_co_ci_u32_e64 v28, null, v22, v21, vcc_lo
	s_clause 0x1f
	flat_load_ubyte v29, v[27:28] slc
	flat_load_ubyte v30, v[27:28] offset:32 slc
	flat_load_ubyte v31, v[27:28] offset:64 slc
	;; [unrolled: 1-line block ×31, first 2 shown]
	v_add_co_u32 v27, vcc_lo, v9, v25
	v_add_co_ci_u32_e64 v28, null, v22, v26, vcc_lo
	v_sub_co_u32 v2, vcc_lo, v2, v17
	v_sub_co_ci_u32_e64 v3, null, v3, v23, vcc_lo
	v_add_co_u32 v20, vcc_lo, v20, v19
	v_add_co_ci_u32_e64 v21, null, v21, v24, vcc_lo
	v_add_co_u32 v25, vcc_lo, v25, v19
	v_add_co_ci_u32_e64 v26, null, v26, v24, vcc_lo
	v_cmp_gt_i64_e32 vcc_lo, 1, v[2:3]
	s_waitcnt vmcnt(31) lgkmcnt(31)
	flat_store_byte v[27:28], v29 glc slc
	s_waitcnt vmcnt(30) lgkmcnt(31)
	flat_store_byte v[27:28], v30 offset:32 glc slc
	s_waitcnt vmcnt(29) lgkmcnt(31)
	flat_store_byte v[27:28], v31 offset:64 glc slc
	;; [unrolled: 2-line block ×31, first 2 shown]
	s_or_b32 s7, vcc_lo, s7
	s_andn2_b32 exec_lo, exec_lo, s7
	s_cbranch_execnz .LBB10_33
; %bb.34:
	s_or_b32 exec_lo, exec_lo, s7
.LBB10_35:
	s_or_b32 exec_lo, exec_lo, s4
	v_lshlrev_b64 v[6:7], 10, v[6:7]
	v_cmp_ne_u64_e32 vcc_lo, v[4:5], v[6:7]
	s_and_b32 exec_lo, exec_lo, vcc_lo
	s_cbranch_execz .LBB10_39
; %bb.36:
	v_lshlrev_b32_e32 v3, 5, v8
	v_lshlrev_b32_e32 v2, 5, v2
	v_sub_nc_u32_e32 v3, v16, v3
	v_sub_nc_u32_e32 v8, v3, v2
	v_ashrrev_i32_e32 v9, 31, v8
	v_add_co_u32 v2, vcc_lo, v6, v8
	v_add_co_ci_u32_e64 v3, null, v7, v9, vcc_lo
	v_sub_co_u32 v2, vcc_lo, v4, v2
	v_sub_co_ci_u32_e64 v3, null, v5, v3, vcc_lo
	v_cmp_lt_i64_e32 vcc_lo, 0, v[2:3]
	s_and_b32 exec_lo, exec_lo, vcc_lo
	s_cbranch_execz .LBB10_39
; %bb.37:
	v_ashrrev_i16 v4, 15, v18
	v_mov_b32_e32 v5, 5
	v_add_co_u32 v14, vcc_lo, v14, v0
	v_add_co_ci_u32_e64 v1, null, v15, v1, vcc_lo
	v_lshrrev_b16 v4, 11, v4
	s_mov_b32 s7, 0
	v_add_nc_u16 v4, v18, v4
	v_ashrrev_i16 v4, 5, v4
	v_lshlrev_b32_sdwa v0, v5, sext(v4) dst_sel:DWORD dst_unused:UNUSED_PAD src0_sel:DWORD src1_sel:WORD_0
	v_add_co_u32 v4, vcc_lo, v14, v6
	v_add_co_ci_u32_e64 v5, null, v1, v7, vcc_lo
	v_ashrrev_i32_e32 v1, 31, v0
	v_add_co_u32 v4, vcc_lo, v4, v8
	v_add_co_ci_u32_e64 v5, null, v5, v9, vcc_lo
	.p2align	6
.LBB10_38:                              ; =>This Inner Loop Header: Depth=1
	v_add_co_u32 v6, vcc_lo, v12, v4
	v_add_co_ci_u32_e64 v7, null, v13, v5, vcc_lo
	v_sub_co_u32 v2, vcc_lo, v2, v0
	v_sub_co_ci_u32_e64 v3, null, v3, v1, vcc_lo
	flat_load_ubyte v8, v[6:7] slc
	v_add_co_u32 v6, vcc_lo, v10, v4
	v_add_co_ci_u32_e64 v7, null, v11, v5, vcc_lo
	v_cmp_gt_i64_e32 vcc_lo, 1, v[2:3]
	v_add_co_u32 v4, s4, v4, v0
	v_add_co_ci_u32_e64 v5, null, v5, v1, s4
	s_or_b32 s7, vcc_lo, s7
	s_waitcnt vmcnt(0) lgkmcnt(0)
	flat_store_byte v[6:7], v8 glc slc
	s_andn2_b32 exec_lo, exec_lo, s7
	s_cbranch_execnz .LBB10_38
.LBB10_39:
	s_or_b32 exec_lo, exec_lo, s6
                                        ; implicit-def: $vgpr48_vgpr49
                                        ; implicit-def: $vgpr14_vgpr15
                                        ; implicit-def: $vgpr4_vgpr5
                                        ; implicit-def: $vgpr38_vgpr39
                                        ; implicit-def: $vgpr3
                                        ; implicit-def: $vgpr2
                                        ; implicit-def: $vgpr0
                                        ; implicit-def: $vgpr31
                                        ; implicit-def: $vgpr12_vgpr13
                                        ; implicit-def: $vgpr8_vgpr9
	s_andn2_saveexec_b32 s15, s5
	s_cbranch_execz .LBB10_10
.LBB10_40:
	s_load_dword s4, s[8:9], 0x0
	v_mov_b32_e32 v7, 0
	v_ashrrev_i32_e32 v1, 31, v0
	s_waitcnt vmcnt(2)
	v_lshrrev_b64 v[8:9], 31, v[8:9]
	v_lshrrev_b32_e32 v16, 27, v1
	v_and_b32_e32 v8, 3, v8
	v_add_nc_u32_e32 v16, v0, v16
	v_and_b32_e32 v24, 0xffff, v8
	v_and_b32_e32 v9, 0xffffffe0, v16
	v_mov_b32_e32 v16, 0
	v_mov_b32_e32 v17, 0
	s_waitcnt lgkmcnt(0)
	s_cmp_lt_u32 s12, s4
	v_sub_nc_u32_e32 v28, v0, v9
	s_cselect_b32 s4, 12, 18
	s_add_u32 s4, s8, s4
	s_addc_u32 s5, s9, 0
	global_load_ushort v30, v7, s[4:5]
	s_trap 2
	ds_read_b32 v6, v0
	v_cmp_eq_u32_e64 s4, 0, v28
	s_mov_b32 s5, 0
	s_waitcnt lgkmcnt(0)
	v_cmp_gt_i32_e32 vcc_lo, 0, v6
	v_readfirstlane_b32 s11, v6
	s_cbranch_vccnz .LBB10_42
; %bb.41:
	s_trap 2
	ds_read_b64 v[8:9], v0
	v_lshlrev_b64 v[6:7], 3, v[6:7]
	s_mov_b32 s5, 1
	s_waitcnt lgkmcnt(0)
	v_add_co_u32 v6, vcc_lo, v8, v6
	v_add_co_ci_u32_e64 v7, null, v9, v7, vcc_lo
	flat_load_dwordx2 v[6:7], v[6:7]
	s_waitcnt vmcnt(0) lgkmcnt(0)
	v_mad_u64_u32 v[6:7], null, 0xa8, v24, v[6:7]
	s_clause 0x1
	flat_load_dwordx2 v[20:21], v[6:7] offset:504
	flat_load_dwordx2 v[22:23], v[6:7] offset:608
	v_add_co_u32 v18, vcc_lo, 0x1f8, v6
	v_add_co_ci_u32_e64 v19, null, 0, v7, vcc_lo
	v_cndmask_b32_e64 v8, 0, v18, s4
	v_cndmask_b32_e64 v9, 0, v19, s4
	s_branch .LBB10_43
.LBB10_42:
	v_mov_b32_e32 v18, 0
	v_mov_b32_e32 v8, 0
	;; [unrolled: 1-line block ×4, first 2 shown]
                                        ; implicit-def: $vgpr22_vgpr23
                                        ; implicit-def: $vgpr20_vgpr21
.LBB10_43:
	s_trap 2
	ds_read_b32 v6, v0
	s_waitcnt lgkmcnt(0)
	v_cmp_gt_i32_e32 vcc_lo, 0, v6
	s_cbranch_vccnz .LBB10_45
; %bb.44:
	s_trap 2
	ds_read_b64 v[16:17], v0
	v_mov_b32_e32 v7, 0
	v_lshlrev_b64 v[6:7], 3, v[6:7]
	s_waitcnt lgkmcnt(0)
	v_add_co_u32 v6, vcc_lo, v16, v6
	v_add_co_ci_u32_e64 v7, null, v17, v7, vcc_lo
	v_cmp_eq_u32_e32 vcc_lo, 0, v28
	flat_load_dwordx2 v[6:7], v[6:7]
	s_waitcnt vmcnt(0) lgkmcnt(0)
	v_mad_u64_u32 v[16:17], null, 0xa8, v24, v[6:7]
	s_clause 0x1
	flat_load_dwordx2 v[24:25], v[16:17]
	flat_load_dwordx2 v[26:27], v[16:17] offset:104
	v_cndmask_b32_e32 v37, 0, v17, vcc_lo
	v_cndmask_b32_e32 v36, 0, v16, vcc_lo
	s_branch .LBB10_46
.LBB10_45:
	v_mov_b32_e32 v36, 0
	v_mov_b32_e32 v37, 0
                                        ; implicit-def: $vgpr26_vgpr27
                                        ; implicit-def: $vgpr24_vgpr25
.LBB10_46:
	v_subrev_nc_u32_e32 v6, 32, v2
	v_cmp_gt_i32_e32 vcc_lo, s5, v28
	v_mov_b32_e32 v32, 0
	v_mov_b32_e32 v33, 0
                                        ; implicit-def: $vgpr28_vgpr29
	v_cmp_ge_i32_e64 s4, v0, v6
	v_mov_b32_e32 v6, 0
	v_mov_b32_e32 v7, 0
	s_and_b32 s16, s4, vcc_lo
	s_and_saveexec_b32 s4, s16
	s_cbranch_execz .LBB10_48
; %bb.47:
	s_clause 0x1
	flat_load_dwordx2 v[32:33], v[8:9] offset:56
	flat_load_dwordx2 v[28:29], v[8:9] offset:104
.LBB10_48:
	s_or_b32 exec_lo, exec_lo, s4
	v_mov_b32_e32 v34, 0
	v_mov_b32_e32 v35, 0
	v_cmp_gt_i32_e64 s4, s5, v0
                                        ; implicit-def: $vgpr50_vgpr51
	s_and_saveexec_b32 s5, s4
	s_cbranch_execz .LBB10_50
; %bb.49:
	flat_load_dwordx2 v[34:35], v[36:37] offset:56
	s_waitcnt vmcnt(0) lgkmcnt(0)
	flat_load_dwordx2 v[50:51], v[34:35] glc dlc
	s_waitcnt vmcnt(0)
	flat_load_dwordx4 v[6:9], v[36:37] offset:96
.LBB10_50:
	s_or_b32 exec_lo, exec_lo, s5
	v_mov_b32_e32 v36, 0
	v_mov_b32_e32 v37, 0
	s_mov_b32 s17, exec_lo
	v_cmpx_ne_u64_e32 0, v[4:5]
	s_cbranch_execnz .LBB10_66
; %bb.51:
	s_or_b32 exec_lo, exec_lo, s17
	s_and_saveexec_b32 s5, s16
	s_cbranch_execnz .LBB10_339
.LBB10_52:
	s_or_b32 exec_lo, exec_lo, s5
	s_and_saveexec_b32 s5, s4
	s_cbranch_execz .LBB10_54
.LBB10_53:
	s_waitcnt vmcnt(0) lgkmcnt(0)
	flat_store_dwordx2 v[16:17], v[8:9] offset:104
.LBB10_54:
	s_or_b32 exec_lo, exec_lo, s5
	s_mov_b32 s4, exec_lo
	v_cmpx_ne_u32_e32 32, v2
	s_cbranch_execz .LBB10_346
; %bb.55:
	s_waitcnt vmcnt(0)
	v_cmp_ne_u32_sdwa s5, v2, v30 src0_sel:DWORD src1_sel:WORD_0
	s_and_saveexec_b32 s6, s5
	s_xor_b32 s5, exec_lo, s6
	s_cbranch_execz .LBB10_344
; %bb.56:
	v_and_b32_e32 v0, 31, v31
	s_mov_b32 s6, exec_lo
	v_cmpx_eq_u32_e32 0, v0
	s_cbranch_execz .LBB10_343
; %bb.57:
	s_mov_b32 s8, exec_lo
	s_mov_b32 s7, exec_lo
	v_mbcnt_lo_u32_b32 v0, s8, 0
	s_waitcnt lgkmcnt(0)
	s_waitcnt_vscnt null, 0x0
	buffer_gl1_inv
	buffer_gl0_inv
	v_cmpx_eq_u32_e32 0, v0
	s_cbranch_execz .LBB10_59
; %bb.58:
	s_bcnt1_i32_b32 s8, s8
	v_mov_b32_e32 v1, 0
	v_mov_b32_e32 v0, s8
	ds_add_u64 v0, v[0:1]
	s_trap 2
.LBB10_59:
	s_or_b32 exec_lo, exec_lo, s7
	s_trap 2
	ds_read_b64 v[3:4], v0
	s_waitcnt lgkmcnt(0)
	buffer_gl0_inv
	v_lshrrev_b32_e32 v0, 5, v2
	s_mov_b32 s7, exec_lo
	v_add_co_u32 v0, vcc_lo, v36, v0
	v_add_co_ci_u32_e64 v1, null, 0, v37, vcc_lo
	v_cmpx_lt_u64_e64 v[3:4], v[0:1]
	s_cbranch_execz .LBB10_342
; %bb.60:
	s_mov_b32 s8, 0
	s_mov_b32 s11, 0
                                        ; implicit-def: $sgpr9
                                        ; implicit-def: $sgpr10
	s_inst_prefetch 0x1
	s_branch .LBB10_62
	.p2align	6
.LBB10_61:                              ;   in Loop: Header=BB10_62 Depth=1
	s_or_b32 exec_lo, exec_lo, s13
	s_and_b32 s12, exec_lo, s14
	s_or_b32 s8, s12, s8
	s_andn2_b32 s9, s9, exec_lo
	s_and_b32 s12, s10, exec_lo
	s_or_b32 s9, s9, s12
	s_andn2_b32 exec_lo, exec_lo, s8
	s_cbranch_execz .LBB10_340
.LBB10_62:                              ; =>This Inner Loop Header: Depth=1
	s_add_i32 s11, s11, 1
	s_cmpk_lg_i32 s11, 0x2710
	s_cselect_b32 s12, -1, 0
	s_and_b32 vcc_lo, exec_lo, s12
	s_cbranch_vccz .LBB10_64
; %bb.63:                               ;   in Loop: Header=BB10_62 Depth=1
	s_mov_b32 s14, -1
	s_or_b32 s10, s10, exec_lo
	s_and_saveexec_b32 s13, s12
	s_cbranch_execz .LBB10_61
	s_branch .LBB10_65
	.p2align	6
.LBB10_64:                              ;   in Loop: Header=BB10_62 Depth=1
	s_trap 2
	ds_read_b64 v[2:3], v0
	s_andn2_b32 s12, s12, exec_lo
	s_mov_b32 s11, 0
	s_waitcnt lgkmcnt(0)
	flat_load_dword v2, v[2:3] glc dlc
	s_waitcnt vmcnt(0) lgkmcnt(0)
	buffer_gl1_inv
	buffer_gl0_inv
	v_cmp_eq_u32_e32 vcc_lo, 0, v2
	s_and_b32 s13, vcc_lo, exec_lo
	s_or_b32 s12, s12, s13
	s_mov_b32 s14, -1
	s_or_b32 s10, s10, exec_lo
	s_and_saveexec_b32 s13, s12
	s_cbranch_execz .LBB10_61
.LBB10_65:                              ;   in Loop: Header=BB10_62 Depth=1
	s_sleep 1
	s_trap 2
	ds_read_b64 v[2:3], v0
	s_waitcnt lgkmcnt(0)
	buffer_gl0_inv
	s_andn2_b32 s10, s10, exec_lo
	v_cmp_ge_u64_e32 vcc_lo, v[2:3], v[0:1]
	s_orn2_b32 s14, vcc_lo, exec_lo
	s_branch .LBB10_61
.LBB10_66:
	v_cvt_f64_u32_e32 v[36:37], 0
	s_waitcnt vmcnt(2)
	v_lshlrev_b32_e32 v52, 4, v38
	v_lshlrev_b32_e32 v84, 3, v0
	s_ashr_i32 s12, s11, 31
	v_mov_b32_e32 v39, 0
	s_lshr_b32 s12, s12, 29
	v_and_b32_e32 v82, 0x1fffff0, v52
	v_ashrrev_i32_e32 v54, 31, v84
	s_add_i32 s14, s11, s12
	v_add_co_u32 v66, s12, v14, v84
	v_cvt_f64_u32_e32 v[64:65], v82
	v_add_co_ci_u32_e64 v67, null, v15, v54, s12
	s_ashr_i32 s19, s14, 7
	s_waitcnt vmcnt(1)
	v_add_co_u32 v86, s14, v10, v84
	v_cmp_ne_u32_e64 s5, v48, v3
	v_cmp_ne_u32_e64 s6, v49, v3
	v_and_b32_e32 v3, 31, v31
	v_add_co_ci_u32_e64 v87, null, v11, v54, s14
	v_ldexp_f64 v[36:37], v[36:37], 32
	v_add_co_u32 v54, s12, v66, v12
	v_cmp_ne_u64_e32 vcc_lo, v[12:13], v[10:11]
	v_add_co_ci_u32_e64 v55, null, v67, v13, s12
	v_lshlrev_b64 v[12:13], 4, v[0:1]
	v_cmp_eq_u32_e64 s11, 0, v3
	v_mov_b32_e32 v3, v39
	v_and_b32_e32 v38, 0x1fffff, v38
	v_add_co_u32 v1, s12, v10, v66
	v_add_co_ci_u32_e64 v99, null, v11, v67, s12
	s_waitcnt lgkmcnt(1)
	v_add_co_u32 v100, s12, v24, v12
	v_mov_b32_e32 v48, 0
	v_cmp_ne_u64_e64 s7, 0, v[34:35]
	s_waitcnt vmcnt(0) lgkmcnt(0)
	v_cmp_ne_u64_e64 s8, 0, v[6:7]
	v_cmp_ne_u64_e64 s10, 0, v[32:33]
	v_lshlrev_b64 v[52:53], 4, v[2:3]
	v_mov_b32_e32 v49, 0
	v_add_f64 v[64:65], v[36:37], v[64:65]
	v_mov_b32_e32 v36, 0
	v_cmp_ne_u32_e64 s9, 32, v2
	v_cmp_ne_u32_sdwa s18, v2, v30 src0_sel:DWORD src1_sel:WORD_0
	v_lshrrev_b32_e32 v83, 5, v2
	v_lshlrev_b32_e32 v85, 3, v2
	v_not_b32_e32 v3, v84
	v_lshlrev_b32_e32 v96, 3, v54
	v_lshlrev_b32_e32 v97, 7, v38
	;; [unrolled: 1-line block ×3, first 2 shown]
	v_add_co_ci_u32_e64 v101, null, v25, v13, s12
	v_mov_b32_e32 v102, 1
	v_mov_b32_e32 v37, 0
	;; [unrolled: 1-line block ×3, first 2 shown]
	s_xor_b32 s12, s13, -1
	s_mov_b32 s13, 0
	s_and_b32 s14, s12, vcc_lo
	s_branch .LBB10_70
.LBB10_67:                              ;   in Loop: Header=BB10_70 Depth=1
	s_or_b32 exec_lo, exec_lo, s22
	v_add_co_u32 v26, vcc_lo, v26, 1
	v_add_co_ci_u32_e64 v27, null, 0, v27, vcc_lo
.LBB10_68:                              ;   in Loop: Header=BB10_70 Depth=1
	s_or_b32 exec_lo, exec_lo, s21
.LBB10_69:                              ;   in Loop: Header=BB10_70 Depth=1
	s_or_b32 exec_lo, exec_lo, s20
	v_add_co_u32 v48, vcc_lo, v48, v82
	v_add_co_ci_u32_e64 v49, null, 0, v49, vcc_lo
	v_add_co_u32 v54, vcc_lo, v54, v82
	v_add_co_ci_u32_e64 v55, null, 0, v55, vcc_lo
	v_cmp_ge_u64_e32 vcc_lo, v[48:49], v[4:5]
	v_add_co_u32 v1, s12, v1, v82
	v_add_nc_u32_e32 v96, v96, v97
	v_add_co_ci_u32_e64 v99, null, 0, v99, s12
	s_or_b32 s13, vcc_lo, s13
	s_andn2_b32 exec_lo, exec_lo, s13
	s_cbranch_execz .LBB10_338
.LBB10_70:                              ; =>This Loop Header: Depth=1
                                        ;     Child Loop BB10_77 Depth 2
                                        ;     Child Loop BB10_96 Depth 2
	;; [unrolled: 1-line block ×3, first 2 shown]
                                        ;       Child Loop BB10_140 Depth 3
                                        ;     Child Loop BB10_206 Depth 2
                                        ;     Child Loop BB10_113 Depth 2
	;; [unrolled: 1-line block ×3, first 2 shown]
                                        ;       Child Loop BB10_172 Depth 3
                                        ;     Child Loop BB10_218 Depth 2
                                        ;     Child Loop BB10_128 Depth 2
	;; [unrolled: 1-line block ×9, first 2 shown]
	s_waitcnt vmcnt(0)
	v_sub_co_u32 v12, vcc_lo, v4, v48
	v_sub_co_ci_u32_e64 v10, null, v5, v49, vcc_lo
	v_cvt_f64_u32_e32 v[12:13], v12
	v_cvt_f64_u32_e32 v[10:11], v10
	v_ldexp_f64 v[10:11], v[10:11], 32
	v_add_f64 v[10:11], v[10:11], v[12:13]
	v_max_f64 v[12:13], v[64:65], v[64:65]
	v_min_f64 v[10:11], v[12:13], v[10:11]
	v_cvt_i32_f64_e32 v10, v[10:11]
	v_max_i32_e32 v12, 0, v10
	s_and_saveexec_b32 s12, s5
	s_xor_b32 s20, exec_lo, s12
	s_cbranch_execz .LBB10_121
; %bb.71:                               ;   in Loop: Header=BB10_70 Depth=1
	v_add_co_u32 v13, vcc_lo, v48, v14
	v_add_co_ci_u32_e64 v67, null, v49, v15, vcc_lo
	s_and_saveexec_b32 s12, s6
	s_xor_b32 s21, exec_lo, s12
	s_cbranch_execz .LBB10_115
; %bb.72:                               ;   in Loop: Header=BB10_70 Depth=1
	s_and_saveexec_b32 s22, s7
	s_cbranch_execz .LBB10_88
; %bb.73:                               ;   in Loop: Header=BB10_70 Depth=1
	v_add_co_u32 v10, vcc_lo, v8, 1
	v_add_co_ci_u32_e64 v11, null, 0, v9, vcc_lo
	s_waitcnt lgkmcnt(0)
	v_add_co_u32 v68, vcc_lo, v50, 8
	v_add_co_ci_u32_e64 v69, null, 0, v51, vcc_lo
	s_mov_b32 s23, exec_lo
	v_cmpx_lt_u64_e64 v[68:69], v[10:11]
	s_cbranch_execz .LBB10_85
; %bb.74:                               ;   in Loop: Header=BB10_70 Depth=1
	s_mov_b32 s24, 0
	s_mov_b32 s28, 0
	v_cmp_eq_u32_e32 vcc_lo, 0, v103
                                        ; implicit-def: $sgpr25
                                        ; implicit-def: $sgpr26
                                        ; implicit-def: $sgpr27
	s_branch .LBB10_77
.LBB10_75:                              ;   in Loop: Header=BB10_77 Depth=2
	s_or_b32 exec_lo, exec_lo, s43
	s_andn2_b32 s12, s27, exec_lo
	s_and_b32 s27, s41, exec_lo
	s_andn2_b32 s26, s26, exec_lo
	s_and_b32 s40, s40, exec_lo
	s_or_b32 s27, s12, s27
	s_or_b32 s26, s26, s40
.LBB10_76:                              ;   in Loop: Header=BB10_77 Depth=2
	s_or_b32 exec_lo, exec_lo, s29
	s_and_b32 s12, exec_lo, s26
	s_or_b32 s24, s12, s24
	s_andn2_b32 s12, s25, exec_lo
	s_and_b32 s25, s27, exec_lo
	s_or_b32 s25, s12, s25
	s_andn2_b32 exec_lo, exec_lo, s24
	s_cbranch_execz .LBB10_82
.LBB10_77:                              ;   Parent Loop BB10_70 Depth=1
                                        ; =>  This Inner Loop Header: Depth=2
	s_sleep 1
	s_waitcnt vmcnt(0) lgkmcnt(0)
	flat_load_dwordx2 v[50:51], v[34:35] glc dlc
	v_mov_b32_e32 v103, 1
	s_or_b32 s27, s27, exec_lo
	s_or_b32 s26, s26, exec_lo
                                        ; implicit-def: $vgpr9
	s_and_saveexec_b32 s29, vcc_lo
	s_cbranch_execz .LBB10_76
; %bb.78:                               ;   in Loop: Header=BB10_77 Depth=2
	s_add_i32 s28, s28, 1
	s_mov_b32 s40, -1
	s_cmpk_lg_i32 s28, 0x2710
	s_mov_b32 s41, -1
	s_cselect_b32 s42, -1, 0
	s_cmpk_eq_i32 s28, 0x2710
                                        ; implicit-def: $vgpr9
	s_cbranch_scc1 .LBB10_80
; %bb.79:                               ;   in Loop: Header=BB10_77 Depth=2
	v_mov_b32_e32 v103, 1
	s_and_saveexec_b32 s43, s42
	s_cbranch_execz .LBB10_75
	s_branch .LBB10_81
.LBB10_80:                              ;   in Loop: Header=BB10_77 Depth=2
	s_trap 2
	ds_read_b64 v[68:69], v0
	s_andn2_b32 s28, s42, exec_lo
	s_mov_b32 s41, 0
	s_waitcnt vmcnt(0) lgkmcnt(0)
	s_waitcnt_vscnt null, 0x0
	flat_load_dword v9, v[68:69] glc dlc
	s_waitcnt vmcnt(0) lgkmcnt(0)
	buffer_gl1_inv
	buffer_gl0_inv
	v_cmp_eq_u32_e64 s12, 0, v9
	s_and_b32 s12, s12, exec_lo
	s_or_b32 s42, s28, s12
	s_mov_b32 s28, 0
	v_mov_b32_e32 v103, 1
	s_and_saveexec_b32 s43, s42
	s_cbranch_execz .LBB10_75
.LBB10_81:                              ;   in Loop: Header=BB10_77 Depth=2
	s_waitcnt vmcnt(0) lgkmcnt(0)
	v_add_co_u32 v68, s12, v50, 8
	v_add_co_ci_u32_e64 v69, null, 0, v51, s12
	v_mov_b32_e32 v103, 0
	s_or_b32 s41, s41, exec_lo
	v_cmp_ge_u64_e64 s12, v[68:69], v[10:11]
	s_orn2_b32 s40, s12, exec_lo
	s_branch .LBB10_75
.LBB10_82:                              ;   in Loop: Header=BB10_70 Depth=1
	s_or_b32 exec_lo, exec_lo, s24
	s_xor_b32 s12, s25, -1
	s_and_saveexec_b32 s24, s12
	s_xor_b32 s12, exec_lo, s24
	s_cbranch_execz .LBB10_84
; %bb.83:                               ;   in Loop: Header=BB10_70 Depth=1
	v_mov_b32_e32 v103, 1
	s_waitcnt vmcnt(0) lgkmcnt(0)
	s_waitcnt_vscnt null, 0x0
	ds_write_b32 v0, v9
	s_trap 2
.LBB10_84:                              ;   in Loop: Header=BB10_70 Depth=1
	s_or_b32 exec_lo, exec_lo, s12
.LBB10_85:                              ;   in Loop: Header=BB10_70 Depth=1
	s_or_b32 exec_lo, exec_lo, s23
	s_and_saveexec_b32 s12, s8
	s_cbranch_execz .LBB10_87
; %bb.86:                               ;   in Loop: Header=BB10_70 Depth=1
	v_add_nc_u32_e32 v9, 7, v12
	v_ashrrev_i32_e32 v38, 31, v9
	v_lshrrev_b32_e32 v38, 29, v38
	v_add_nc_u32_e32 v9, v9, v38
	v_and_b32_e32 v38, 0x7ffffff8, v8
	v_lshrrev_b32_e32 v9, 3, v9
	v_cmp_eq_u64_e32 vcc_lo, 0x7ffffff8, v[38:39]
	v_and_b32_e32 v38, 7, v8
	v_mad_u64_u32 v[68:69], null, v38, 24, v[6:7]
	v_cndmask_b32_e64 v9, v9, s19, vcc_lo
	v_lshlrev_b32_e32 v8, 4, v9
	v_ashrrev_i32_e32 v9, 31, v8
	flat_store_dwordx2 v[68:69], v[8:9] offset:8
	s_waitcnt_vscnt null, 0x0
.LBB10_87:                              ;   in Loop: Header=BB10_70 Depth=1
	s_or_b32 exec_lo, exec_lo, s12
	v_mov_b32_e32 v8, v10
	v_mov_b32_e32 v9, v11
.LBB10_88:                              ;   in Loop: Header=BB10_70 Depth=1
	s_or_b32 exec_lo, exec_lo, s22
	s_and_saveexec_b32 s12, s9
	s_cbranch_execz .LBB10_107
; %bb.89:                               ;   in Loop: Header=BB10_70 Depth=1
	s_and_saveexec_b32 s22, s18
	s_xor_b32 s22, exec_lo, s22
	s_cbranch_execz .LBB10_104
; %bb.90:                               ;   in Loop: Header=BB10_70 Depth=1
	s_and_saveexec_b32 s23, s11
	s_cbranch_execz .LBB10_103
; %bb.91:                               ;   in Loop: Header=BB10_70 Depth=1
	s_mov_b32 s25, exec_lo
	s_mov_b32 s24, exec_lo
	v_mbcnt_lo_u32_b32 v10, s25, 0
	s_waitcnt vmcnt(0) lgkmcnt(0)
	s_waitcnt_vscnt null, 0x0
	buffer_gl1_inv
	buffer_gl0_inv
	v_cmpx_eq_u32_e32 0, v10
	s_cbranch_execz .LBB10_93
; %bb.92:                               ;   in Loop: Header=BB10_70 Depth=1
	s_bcnt1_i32_b32 s25, s25
	v_mov_b32_e32 v38, s25
	ds_add_u64 v0, v[38:39]
	s_trap 2
.LBB10_93:                              ;   in Loop: Header=BB10_70 Depth=1
	s_or_b32 exec_lo, exec_lo, s24
	s_trap 2
	ds_read_b64 v[10:11], v0
	s_waitcnt lgkmcnt(0)
	buffer_gl0_inv
	v_add_co_u32 v36, vcc_lo, v36, v83
	v_add_co_ci_u32_e64 v37, null, 0, v37, vcc_lo
	s_mov_b32 s24, exec_lo
	v_cmpx_lt_u64_e64 v[10:11], v[36:37]
	s_cbranch_execz .LBB10_102
; %bb.94:                               ;   in Loop: Header=BB10_70 Depth=1
	s_mov_b32 s25, 0
	s_mov_b32 s28, 0
                                        ; implicit-def: $sgpr26
                                        ; implicit-def: $sgpr27
	s_inst_prefetch 0x1
	s_branch .LBB10_96
	.p2align	6
.LBB10_95:                              ;   in Loop: Header=BB10_96 Depth=2
	s_or_b32 exec_lo, exec_lo, s40
	s_and_b32 s29, exec_lo, s41
	s_or_b32 s25, s29, s25
	s_andn2_b32 s26, s26, exec_lo
	s_and_b32 s29, s27, exec_lo
	s_or_b32 s26, s26, s29
	s_andn2_b32 exec_lo, exec_lo, s25
	s_cbranch_execz .LBB10_100
.LBB10_96:                              ;   Parent Loop BB10_70 Depth=1
                                        ; =>  This Inner Loop Header: Depth=2
	s_add_i32 s28, s28, 1
	s_cmpk_lg_i32 s28, 0x2710
	s_cselect_b32 s29, -1, 0
	s_and_b32 vcc_lo, exec_lo, s29
	s_cbranch_vccz .LBB10_98
; %bb.97:                               ;   in Loop: Header=BB10_96 Depth=2
	s_mov_b32 s41, -1
	s_or_b32 s27, s27, exec_lo
	s_and_saveexec_b32 s40, s29
	s_cbranch_execz .LBB10_95
	s_branch .LBB10_99
	.p2align	6
.LBB10_98:                              ;   in Loop: Header=BB10_96 Depth=2
	s_trap 2
	ds_read_b64 v[10:11], v0
	s_andn2_b32 s29, s29, exec_lo
	s_mov_b32 s28, 0
	s_waitcnt lgkmcnt(0)
	flat_load_dword v10, v[10:11] glc dlc
	s_waitcnt vmcnt(0) lgkmcnt(0)
	buffer_gl1_inv
	buffer_gl0_inv
	v_cmp_eq_u32_e32 vcc_lo, 0, v10
	s_and_b32 s40, vcc_lo, exec_lo
	s_or_b32 s29, s29, s40
	s_mov_b32 s41, -1
	s_or_b32 s27, s27, exec_lo
	s_and_saveexec_b32 s40, s29
	s_cbranch_execz .LBB10_95
.LBB10_99:                              ;   in Loop: Header=BB10_96 Depth=2
	s_sleep 1
	s_trap 2
	ds_read_b64 v[10:11], v0
	s_waitcnt lgkmcnt(0)
	buffer_gl0_inv
	s_andn2_b32 s27, s27, exec_lo
	v_cmp_ge_u64_e32 vcc_lo, v[10:11], v[36:37]
	s_orn2_b32 s41, vcc_lo, exec_lo
	s_branch .LBB10_95
.LBB10_100:                             ;   in Loop: Header=BB10_70 Depth=1
	s_inst_prefetch 0x2
	s_or_b32 exec_lo, exec_lo, s25
	s_and_saveexec_b32 s25, s26
	s_xor_b32 s25, exec_lo, s25
	s_cbranch_execz .LBB10_102
; %bb.101:                              ;   in Loop: Header=BB10_70 Depth=1
	ds_write_b32 v0, v102
	s_trap 2
.LBB10_102:                             ;   in Loop: Header=BB10_70 Depth=1
	s_or_b32 exec_lo, exec_lo, s24
	;;#ASMSTART
	s_wakeup
	;;#ASMEND
.LBB10_103:                             ;   in Loop: Header=BB10_70 Depth=1
	s_or_b32 exec_lo, exec_lo, s23
.LBB10_104:                             ;   in Loop: Header=BB10_70 Depth=1
	s_andn2_saveexec_b32 s22, s22
	s_cbranch_execz .LBB10_106
; %bb.105:                              ;   in Loop: Header=BB10_70 Depth=1
	s_waitcnt vmcnt(0) lgkmcnt(0)
	s_waitcnt_vscnt null, 0x0
	buffer_gl1_inv
	buffer_gl0_inv
	s_barrier
.LBB10_106:                             ;   in Loop: Header=BB10_70 Depth=1
	s_or_b32 exec_lo, exec_lo, s22
.LBB10_107:                             ;   in Loop: Header=BB10_70 Depth=1
	s_or_b32 exec_lo, exec_lo, s12
	v_sub_nc_u32_e32 v38, v12, v84
	v_mov_b32_e32 v66, v0
	s_mov_b32 s22, exec_lo
	v_cmpx_lt_i32_e32 0, v38
	s_cbranch_execnz .LBB10_134
; %bb.108:                              ;   in Loop: Header=BB10_70 Depth=1
	s_or_b32 exec_lo, exec_lo, s22
	s_and_saveexec_b32 s12, s9
	s_cbranch_execnz .LBB10_199
.LBB10_109:                             ;   in Loop: Header=BB10_70 Depth=1
	s_or_b32 exec_lo, exec_lo, s12
	s_and_saveexec_b32 s12, s10
	s_cbranch_execz .LBB10_111
.LBB10_110:                             ;   in Loop: Header=BB10_70 Depth=1
	v_add_co_u32 v28, vcc_lo, v28, 1
	v_add_co_ci_u32_e64 v29, null, 0, v29, vcc_lo
	s_waitcnt vmcnt(0) lgkmcnt(0)
	s_waitcnt_vscnt null, 0x0
	flat_store_dwordx2 v[32:33], v[28:29]
.LBB10_111:                             ;   in Loop: Header=BB10_70 Depth=1
	s_or_b32 exec_lo, exec_lo, s12
	v_and_b32_e32 v38, 0x7ffffff8, v26
	v_cmp_gt_i32_e64 s12, s19, v66
	v_cmp_eq_u64_e32 vcc_lo, 0x7ffffff8, v[38:39]
	s_and_b32 s12, vcc_lo, s12
	s_and_saveexec_b32 s22, s12
	s_cbranch_execz .LBB10_114
; %bb.112:                              ;   in Loop: Header=BB10_70 Depth=1
	v_and_b32_e32 v10, 7, v26
	v_ashrrev_i32_e32 v67, 31, v66
	s_mov_b32 s23, 0
	v_mul_lo_u32 v10, v10, s19
	v_lshlrev_b64 v[12:13], 4, v[66:67]
	v_ashrrev_i32_e32 v11, 31, v10
	v_lshlrev_b64 v[67:68], 4, v[10:11]
	v_add_nc_u32_e32 v11, 1, v26
	v_mov_b32_e32 v10, v39
	v_add_co_u32 v12, vcc_lo, v12, v67
	v_add_co_ci_u32_e64 v13, null, v13, v68, vcc_lo
	v_add_co_u32 v67, vcc_lo, v24, v12
	v_add_co_ci_u32_e64 v68, null, v25, v13, vcc_lo
.LBB10_113:                             ;   Parent Loop BB10_70 Depth=1
                                        ; =>  This Inner Loop Header: Depth=2
	v_mov_b32_e32 v12, v10
	v_add_nc_u32_e32 v66, v66, v2
	v_mov_b32_e32 v13, v11
	v_cmp_le_i32_e32 vcc_lo, s19, v66
	global_store_dwordx4 v[67:68], v[10:13], off
	v_add_co_u32 v67, s12, v67, v52
	v_add_co_ci_u32_e64 v68, null, v68, v53, s12
	s_or_b32 s23, vcc_lo, s23
	s_andn2_b32 exec_lo, exec_lo, s23
	s_cbranch_execnz .LBB10_113
.LBB10_114:                             ;   in Loop: Header=BB10_70 Depth=1
	s_or_b32 exec_lo, exec_lo, s22
	v_add_co_u32 v22, vcc_lo, v22, 1
	v_add_co_ci_u32_e64 v23, null, 0, v23, vcc_lo
	v_add_co_u32 v26, vcc_lo, v26, 1
	v_add_co_ci_u32_e64 v27, null, 0, v27, vcc_lo
                                        ; implicit-def: $vgpr12
                                        ; implicit-def: $vgpr13
                                        ; implicit-def: $vgpr67
.LBB10_115:                             ;   in Loop: Header=BB10_70 Depth=1
	s_andn2_saveexec_b32 s21, s21
	s_cbranch_execz .LBB10_133
; %bb.116:                              ;   in Loop: Header=BB10_70 Depth=1
	v_sub_nc_u32_e32 v38, v12, v84
	s_mov_b32 s22, exec_lo
	v_cmpx_lt_i32_e32 0, v38
	s_cbranch_execnz .LBB10_166
; %bb.117:                              ;   in Loop: Header=BB10_70 Depth=1
	s_or_b32 exec_lo, exec_lo, s22
	s_and_saveexec_b32 s12, s9
	s_cbranch_execnz .LBB10_211
.LBB10_118:                             ;   in Loop: Header=BB10_70 Depth=1
	s_or_b32 exec_lo, exec_lo, s12
	s_and_saveexec_b32 s12, s10
	s_cbranch_execz .LBB10_120
.LBB10_119:                             ;   in Loop: Header=BB10_70 Depth=1
	v_add_co_u32 v28, vcc_lo, v28, 1
	v_add_co_ci_u32_e64 v29, null, 0, v29, vcc_lo
	s_waitcnt vmcnt(0) lgkmcnt(0)
	s_waitcnt_vscnt null, 0x0
	flat_store_dwordx2 v[32:33], v[28:29]
.LBB10_120:                             ;   in Loop: Header=BB10_70 Depth=1
	s_or_b32 exec_lo, exec_lo, s12
	v_add_co_u32 v22, vcc_lo, v22, 1
	v_add_co_ci_u32_e64 v23, null, 0, v23, vcc_lo
	s_or_b32 exec_lo, exec_lo, s21
                                        ; implicit-def: $vgpr12
.LBB10_121:                             ;   in Loop: Header=BB10_70 Depth=1
	s_andn2_saveexec_b32 s20, s20
	s_cbranch_execz .LBB10_69
.LBB10_122:                             ;   in Loop: Header=BB10_70 Depth=1
	s_waitcnt vmcnt(0)
	v_add_nc_u32_e32 v10, 7, v12
	v_ashrrev_i32_e32 v11, 31, v10
	v_lshrrev_b32_e32 v11, 29, v11
	v_add_nc_u32_e32 v10, v10, v11
	v_ashrrev_i32_e32 v13, 3, v10
	s_and_saveexec_b32 s12, s14
	s_xor_b32 s21, exec_lo, s12
	s_cbranch_execz .LBB10_291
; %bb.123:                              ;   in Loop: Header=BB10_70 Depth=1
	s_and_saveexec_b32 s22, s7
	s_cbranch_execz .LBB10_228
; %bb.124:                              ;   in Loop: Header=BB10_70 Depth=1
	v_add_co_u32 v10, vcc_lo, v8, 1
	v_add_co_ci_u32_e64 v11, null, 0, v9, vcc_lo
	s_waitcnt lgkmcnt(0)
	v_add_co_u32 v66, vcc_lo, v50, 8
	v_add_co_ci_u32_e64 v67, null, 0, v51, vcc_lo
	s_mov_b32 s23, exec_lo
	v_cmpx_lt_u64_e64 v[66:67], v[10:11]
	s_cbranch_execz .LBB10_225
; %bb.125:                              ;   in Loop: Header=BB10_70 Depth=1
	s_mov_b32 s24, 0
	s_mov_b32 s28, 0
	v_cmp_eq_u32_e32 vcc_lo, 0, v103
                                        ; implicit-def: $sgpr25
                                        ; implicit-def: $sgpr26
                                        ; implicit-def: $sgpr27
	s_branch .LBB10_128
.LBB10_126:                             ;   in Loop: Header=BB10_128 Depth=2
	s_or_b32 exec_lo, exec_lo, s43
	s_andn2_b32 s12, s27, exec_lo
	s_and_b32 s27, s41, exec_lo
	s_andn2_b32 s26, s26, exec_lo
	s_and_b32 s40, s40, exec_lo
	s_or_b32 s27, s12, s27
	s_or_b32 s26, s26, s40
.LBB10_127:                             ;   in Loop: Header=BB10_128 Depth=2
	s_or_b32 exec_lo, exec_lo, s29
	s_and_b32 s12, exec_lo, s26
	s_or_b32 s24, s12, s24
	s_andn2_b32 s12, s25, exec_lo
	s_and_b32 s25, s27, exec_lo
	s_or_b32 s25, s12, s25
	s_andn2_b32 exec_lo, exec_lo, s24
	s_cbranch_execz .LBB10_222
.LBB10_128:                             ;   Parent Loop BB10_70 Depth=1
                                        ; =>  This Inner Loop Header: Depth=2
	s_sleep 1
	s_waitcnt vmcnt(0) lgkmcnt(0)
	flat_load_dwordx2 v[50:51], v[34:35] glc dlc
	v_mov_b32_e32 v103, 1
	s_or_b32 s27, s27, exec_lo
	s_or_b32 s26, s26, exec_lo
                                        ; implicit-def: $vgpr9
	s_and_saveexec_b32 s29, vcc_lo
	s_cbranch_execz .LBB10_127
; %bb.129:                              ;   in Loop: Header=BB10_128 Depth=2
	s_add_i32 s28, s28, 1
	s_mov_b32 s40, -1
	s_cmpk_lg_i32 s28, 0x2710
	s_mov_b32 s41, -1
	s_cselect_b32 s42, -1, 0
	s_cmpk_eq_i32 s28, 0x2710
                                        ; implicit-def: $vgpr9
	s_cbranch_scc1 .LBB10_131
; %bb.130:                              ;   in Loop: Header=BB10_128 Depth=2
	v_mov_b32_e32 v103, 1
	s_and_saveexec_b32 s43, s42
	s_cbranch_execz .LBB10_126
	s_branch .LBB10_132
.LBB10_131:                             ;   in Loop: Header=BB10_128 Depth=2
	s_trap 2
	ds_read_b64 v[66:67], v0
	s_andn2_b32 s28, s42, exec_lo
	s_mov_b32 s41, 0
	s_waitcnt vmcnt(0) lgkmcnt(0)
	s_waitcnt_vscnt null, 0x0
	flat_load_dword v9, v[66:67] glc dlc
	s_waitcnt vmcnt(0) lgkmcnt(0)
	buffer_gl1_inv
	buffer_gl0_inv
	v_cmp_eq_u32_e64 s12, 0, v9
	s_and_b32 s12, s12, exec_lo
	s_or_b32 s42, s28, s12
	s_mov_b32 s28, 0
	v_mov_b32_e32 v103, 1
	s_and_saveexec_b32 s43, s42
	s_cbranch_execz .LBB10_126
.LBB10_132:                             ;   in Loop: Header=BB10_128 Depth=2
	s_waitcnt vmcnt(0) lgkmcnt(0)
	v_add_co_u32 v66, s12, v50, 8
	v_add_co_ci_u32_e64 v67, null, 0, v51, s12
	v_mov_b32_e32 v103, 0
	s_or_b32 s41, s41, exec_lo
	v_cmp_ge_u64_e64 s12, v[66:67], v[10:11]
	s_orn2_b32 s40, s12, exec_lo
	s_branch .LBB10_126
.LBB10_133:                             ;   in Loop: Header=BB10_70 Depth=1
	s_or_b32 exec_lo, exec_lo, s21
                                        ; implicit-def: $vgpr12
	s_andn2_saveexec_b32 s20, s20
	s_cbranch_execz .LBB10_69
	s_branch .LBB10_122
.LBB10_134:                             ;   in Loop: Header=BB10_70 Depth=1
	v_and_b32_e32 v10, 7, v22
	v_and_b32_e32 v11, 7, v26
	v_add_co_u32 v68, vcc_lo, v86, v13
	v_add_co_ci_u32_e64 v69, null, v87, v67, vcc_lo
	v_mul_lo_u32 v10, v10, s19
	v_mul_lo_u32 v70, v11, s19
	v_add_nc_u32_e32 v112, 1, v22
	v_add_nc_u32_e32 v113, 1, v26
	v_mov_b32_e32 v66, v0
	s_mov_b32 s23, 0
	v_ashrrev_i32_e32 v11, 31, v10
	v_ashrrev_i32_e32 v71, 31, v70
	v_lshlrev_b64 v[10:11], 4, v[10:11]
	v_lshlrev_b64 v[12:13], 4, v[70:71]
	v_add_co_u32 v114, vcc_lo, v20, v10
	v_add_co_ci_u32_e64 v115, null, v21, v11, vcc_lo
	v_add_co_u32 v116, vcc_lo, v24, v12
	v_add_co_ci_u32_e64 v117, null, v25, v13, vcc_lo
	s_branch .LBB10_136
.LBB10_135:                             ;   in Loop: Header=BB10_136 Depth=2
	v_sub_nc_u32_e32 v38, v38, v85
	v_add_co_u32 v68, s12, v68, v85
	v_add_co_ci_u32_e64 v69, null, 0, v69, s12
	v_cmp_gt_i32_e32 vcc_lo, 1, v38
	v_add_nc_u32_e32 v66, v66, v2
	s_or_b32 s23, vcc_lo, s23
	s_andn2_b32 exec_lo, exec_lo, s23
	s_cbranch_execz .LBB10_198
.LBB10_136:                             ;   Parent Loop BB10_70 Depth=1
                                        ; =>  This Loop Header: Depth=2
                                        ;       Child Loop BB10_140 Depth 3
	v_ashrrev_i32_e32 v67, 31, v66
	v_lshlrev_b64 v[70:71], 4, v[66:67]
	v_add_co_u32 v80, vcc_lo, v114, v70
	v_add_co_ci_u32_e64 v81, null, v115, v71, vcc_lo
	v_cmp_eq_u32_e32 vcc_lo, 0, v103
	v_mov_b32_e32 v103, 1
	global_load_dwordx4 v[10:13], v[80:81], off slc
	s_and_saveexec_b32 s24, vcc_lo
	s_cbranch_execz .LBB10_148
; %bb.137:                              ;   in Loop: Header=BB10_136 Depth=2
	s_waitcnt vmcnt(0)
	v_cmp_ne_u32_e32 vcc_lo, v112, v11
	v_cmp_ne_u32_e64 s12, v112, v13
	v_mov_b32_e32 v103, 0
	s_or_b32 s12, vcc_lo, s12
	s_and_saveexec_b32 s25, s12
	s_cbranch_execz .LBB10_147
; %bb.138:                              ;   in Loop: Header=BB10_136 Depth=2
	s_mov_b32 s29, 1
	s_mov_b32 s27, 0
                                        ; implicit-def: $sgpr26
                                        ; implicit-def: $sgpr28
	s_inst_prefetch 0x1
	s_branch .LBB10_140
	.p2align	6
.LBB10_139:                             ;   in Loop: Header=BB10_140 Depth=3
	s_or_b32 exec_lo, exec_lo, s41
	s_and_b32 s12, exec_lo, s12
	s_or_b32 s27, s12, s27
	s_andn2_b32 s12, s26, exec_lo
	s_and_b32 s26, s28, exec_lo
	s_or_b32 s26, s12, s26
	s_andn2_b32 exec_lo, exec_lo, s27
	s_cbranch_execz .LBB10_144
.LBB10_140:                             ;   Parent Loop BB10_70 Depth=1
                                        ;     Parent Loop BB10_136 Depth=2
                                        ; =>    This Inner Loop Header: Depth=3
	global_load_dwordx4 v[10:13], v[80:81], off slc
	s_add_i32 s29, s29, 1
	s_mov_b32 s12, -1
	s_cmpk_lg_i32 s29, 0x2710
	s_mov_b32 s40, -1
                                        ; implicit-def: $vgpr67
	s_cbranch_scc0 .LBB10_142
; %bb.141:                              ;   in Loop: Header=BB10_140 Depth=3
	s_or_b32 s28, s28, exec_lo
	s_and_saveexec_b32 s41, s40
	s_cbranch_execz .LBB10_139
	s_branch .LBB10_143
	.p2align	6
.LBB10_142:                             ;   in Loop: Header=BB10_140 Depth=3
	s_trap 2
	ds_read_b64 v[118:119], v0
	s_mov_b32 s29, 0
	s_waitcnt vmcnt(0) lgkmcnt(0)
	s_waitcnt_vscnt null, 0x0
	flat_load_dword v67, v[118:119] glc dlc
	s_waitcnt vmcnt(0) lgkmcnt(0)
	buffer_gl1_inv
	buffer_gl0_inv
	v_cmp_eq_u32_e32 vcc_lo, 0, v67
	s_orn2_b32 s40, vcc_lo, exec_lo
	s_or_b32 s28, s28, exec_lo
	s_and_saveexec_b32 s41, s40
	s_cbranch_execz .LBB10_139
.LBB10_143:                             ;   in Loop: Header=BB10_140 Depth=3
	s_waitcnt vmcnt(0)
	v_cmp_eq_u32_e32 vcc_lo, v112, v11
	v_cmp_eq_u32_e64 s12, v112, v13
	s_andn2_b32 s28, s28, exec_lo
	s_and_b32 s12, vcc_lo, s12
	s_orn2_b32 s12, s12, exec_lo
	s_branch .LBB10_139
.LBB10_144:                             ;   in Loop: Header=BB10_136 Depth=2
	s_inst_prefetch 0x2
	s_or_b32 exec_lo, exec_lo, s27
	v_mov_b32_e32 v103, 0
	s_and_saveexec_b32 s12, s26
	s_xor_b32 s12, exec_lo, s12
	s_cbranch_execz .LBB10_146
; %bb.145:                              ;   in Loop: Header=BB10_136 Depth=2
	v_mov_b32_e32 v103, 1
	s_waitcnt vmcnt(0) lgkmcnt(0)
	s_waitcnt_vscnt null, 0x0
	ds_write_b32 v0, v67
	s_trap 2
.LBB10_146:                             ;   in Loop: Header=BB10_136 Depth=2
	s_or_b32 exec_lo, exec_lo, s12
.LBB10_147:                             ;   in Loop: Header=BB10_136 Depth=2
	s_or_b32 exec_lo, exec_lo, s25
.LBB10_148:                             ;   in Loop: Header=BB10_136 Depth=2
	s_or_b32 exec_lo, exec_lo, s24
	v_add_co_u32 v70, vcc_lo, v116, v70
	v_add_co_ci_u32_e64 v71, null, v117, v71, vcc_lo
	v_cmp_lt_u32_e32 vcc_lo, 7, v38
	s_waitcnt vmcnt(0)
	v_mov_b32_e32 v11, v113
	v_mov_b32_e32 v13, v113
	s_mov_b32 s12, -1
	s_cmp_lg_u32 vcc_lo, exec_lo
	global_store_dwordx4 v[70:71], v[10:13], off
	s_cbranch_scc0 .LBB10_164
; %bb.149:                              ;   in Loop: Header=BB10_136 Depth=2
	s_mov_b32 s24, exec_lo
	flat_store_byte v[68:69], v10
	v_cmpx_ne_u32_e32 1, v38
	s_cbranch_execz .LBB10_151
; %bb.150:                              ;   in Loop: Header=BB10_136 Depth=2
	v_lshrrev_b32_e32 v11, 8, v10
	flat_store_byte v[68:69], v11 offset:1
.LBB10_151:                             ;   in Loop: Header=BB10_136 Depth=2
	s_or_b32 exec_lo, exec_lo, s24
	s_mov_b32 s24, exec_lo
	v_cmpx_lt_u32_e32 2, v38
	s_cbranch_execz .LBB10_153
; %bb.152:                              ;   in Loop: Header=BB10_136 Depth=2
	flat_store_byte_d16_hi v[68:69], v10 offset:2
.LBB10_153:                             ;   in Loop: Header=BB10_136 Depth=2
	s_or_b32 exec_lo, exec_lo, s24
	s_mov_b32 s24, exec_lo
	v_cmpx_lt_u32_e32 3, v38
	s_cbranch_execz .LBB10_155
; %bb.154:                              ;   in Loop: Header=BB10_136 Depth=2
	v_lshrrev_b32_e32 v11, 24, v10
	flat_store_byte v[68:69], v11 offset:3
.LBB10_155:                             ;   in Loop: Header=BB10_136 Depth=2
	s_or_b32 exec_lo, exec_lo, s24
	s_mov_b32 s24, exec_lo
	v_cmpx_lt_u32_e32 4, v38
	s_cbranch_execz .LBB10_157
; %bb.156:                              ;   in Loop: Header=BB10_136 Depth=2
	flat_store_byte v[68:69], v12 offset:4
.LBB10_157:                             ;   in Loop: Header=BB10_136 Depth=2
	s_or_b32 exec_lo, exec_lo, s24
	s_mov_b32 s24, exec_lo
	v_cmpx_lt_u32_e32 5, v38
	s_cbranch_execz .LBB10_159
; %bb.158:                              ;   in Loop: Header=BB10_136 Depth=2
	v_lshrrev_b32_e32 v11, 8, v12
	flat_store_byte v[68:69], v11 offset:5
.LBB10_159:                             ;   in Loop: Header=BB10_136 Depth=2
	s_or_b32 exec_lo, exec_lo, s24
	s_mov_b32 s24, exec_lo
	v_cmpx_lt_u32_e32 6, v38
	s_cbranch_execz .LBB10_161
; %bb.160:                              ;   in Loop: Header=BB10_136 Depth=2
	flat_store_byte_d16_hi v[68:69], v12 offset:6
.LBB10_161:                             ;   in Loop: Header=BB10_136 Depth=2
	s_or_b32 exec_lo, exec_lo, s24
	s_and_saveexec_b32 s12, vcc_lo
	s_cbranch_execz .LBB10_163
; %bb.162:                              ;   in Loop: Header=BB10_136 Depth=2
	v_lshrrev_b32_e32 v11, 24, v12
	flat_store_byte v[68:69], v11 offset:7
.LBB10_163:                             ;   in Loop: Header=BB10_136 Depth=2
	s_or_b32 exec_lo, exec_lo, s12
	s_mov_b32 s12, 0
.LBB10_164:                             ;   in Loop: Header=BB10_136 Depth=2
	s_and_b32 vcc_lo, exec_lo, s12
	s_cbranch_vccz .LBB10_135
; %bb.165:                              ;   in Loop: Header=BB10_136 Depth=2
	v_mov_b32_e32 v11, v12
	global_store_dwordx2 v[68:69], v[10:11], off
	s_branch .LBB10_135
.LBB10_166:                             ;   in Loop: Header=BB10_70 Depth=1
	v_and_b32_e32 v10, 7, v22
	v_add_co_u32 v66, vcc_lo, v86, v13
	v_add_co_ci_u32_e64 v67, null, v87, v67, vcc_lo
	v_mul_lo_u32 v10, v10, s19
	v_add_nc_u32_e32 v71, 1, v22
	v_mov_b32_e32 v68, v0
	s_mov_b32 s23, 0
	v_ashrrev_i32_e32 v11, 31, v10
	v_lshlrev_b64 v[10:11], 4, v[10:11]
	v_add_co_u32 v80, vcc_lo, v20, v10
	v_add_co_ci_u32_e64 v81, null, v21, v11, vcc_lo
	s_branch .LBB10_168
.LBB10_167:                             ;   in Loop: Header=BB10_168 Depth=2
	v_sub_nc_u32_e32 v38, v38, v85
	v_add_co_u32 v66, s12, v66, v85
	v_add_co_ci_u32_e64 v67, null, 0, v67, s12
	v_cmp_gt_i32_e32 vcc_lo, 1, v38
	v_add_nc_u32_e32 v68, v68, v2
	s_or_b32 s23, vcc_lo, s23
	s_andn2_b32 exec_lo, exec_lo, s23
	s_cbranch_execz .LBB10_210
.LBB10_168:                             ;   Parent Loop BB10_70 Depth=1
                                        ; =>  This Loop Header: Depth=2
                                        ;       Child Loop BB10_172 Depth 3
	v_ashrrev_i32_e32 v69, 31, v68
	s_waitcnt vmcnt(0)
	v_lshlrev_b64 v[10:11], 4, v[68:69]
	v_add_co_u32 v69, vcc_lo, v80, v10
	v_add_co_ci_u32_e64 v70, null, v81, v11, vcc_lo
	v_cmp_eq_u32_e32 vcc_lo, 0, v103
	v_mov_b32_e32 v103, 1
	global_load_dwordx4 v[10:13], v[69:70], off slc
	s_and_saveexec_b32 s24, vcc_lo
	s_cbranch_execz .LBB10_180
; %bb.169:                              ;   in Loop: Header=BB10_168 Depth=2
	s_waitcnt vmcnt(0)
	v_cmp_ne_u32_e32 vcc_lo, v71, v11
	v_cmp_ne_u32_e64 s12, v71, v13
	v_mov_b32_e32 v103, 0
	s_or_b32 s12, vcc_lo, s12
	s_and_saveexec_b32 s25, s12
	s_cbranch_execz .LBB10_179
; %bb.170:                              ;   in Loop: Header=BB10_168 Depth=2
	s_mov_b32 s29, 1
	s_mov_b32 s27, 0
                                        ; implicit-def: $sgpr26
                                        ; implicit-def: $sgpr28
	s_inst_prefetch 0x1
	s_branch .LBB10_172
	.p2align	6
.LBB10_171:                             ;   in Loop: Header=BB10_172 Depth=3
	s_or_b32 exec_lo, exec_lo, s41
	s_and_b32 s12, exec_lo, s12
	s_or_b32 s27, s12, s27
	s_andn2_b32 s12, s26, exec_lo
	s_and_b32 s26, s28, exec_lo
	s_or_b32 s26, s12, s26
	s_andn2_b32 exec_lo, exec_lo, s27
	s_cbranch_execz .LBB10_176
.LBB10_172:                             ;   Parent Loop BB10_70 Depth=1
                                        ;     Parent Loop BB10_168 Depth=2
                                        ; =>    This Inner Loop Header: Depth=3
	global_load_dwordx4 v[10:13], v[69:70], off slc
	s_add_i32 s29, s29, 1
	s_mov_b32 s12, -1
	s_cmpk_lg_i32 s29, 0x2710
	s_mov_b32 s40, -1
                                        ; implicit-def: $vgpr112
	s_cbranch_scc0 .LBB10_174
; %bb.173:                              ;   in Loop: Header=BB10_172 Depth=3
	s_or_b32 s28, s28, exec_lo
	s_and_saveexec_b32 s41, s40
	s_cbranch_execz .LBB10_171
	s_branch .LBB10_175
	.p2align	6
.LBB10_174:                             ;   in Loop: Header=BB10_172 Depth=3
	s_trap 2
	ds_read_b64 v[112:113], v0
	s_mov_b32 s29, 0
	s_waitcnt vmcnt(0) lgkmcnt(0)
	s_waitcnt_vscnt null, 0x0
	flat_load_dword v112, v[112:113] glc dlc
	s_waitcnt vmcnt(0) lgkmcnt(0)
	buffer_gl1_inv
	buffer_gl0_inv
	v_cmp_eq_u32_e32 vcc_lo, 0, v112
	s_orn2_b32 s40, vcc_lo, exec_lo
	s_or_b32 s28, s28, exec_lo
	s_and_saveexec_b32 s41, s40
	s_cbranch_execz .LBB10_171
.LBB10_175:                             ;   in Loop: Header=BB10_172 Depth=3
	s_waitcnt vmcnt(0)
	v_cmp_eq_u32_e32 vcc_lo, v71, v11
	v_cmp_eq_u32_e64 s12, v71, v13
	s_andn2_b32 s28, s28, exec_lo
	s_and_b32 s12, vcc_lo, s12
	s_orn2_b32 s12, s12, exec_lo
	s_branch .LBB10_171
.LBB10_176:                             ;   in Loop: Header=BB10_168 Depth=2
	s_inst_prefetch 0x2
	s_or_b32 exec_lo, exec_lo, s27
	v_mov_b32_e32 v103, 0
	s_and_saveexec_b32 s12, s26
	s_xor_b32 s12, exec_lo, s12
	s_cbranch_execz .LBB10_178
; %bb.177:                              ;   in Loop: Header=BB10_168 Depth=2
	v_mov_b32_e32 v103, 1
	s_waitcnt vmcnt(0) lgkmcnt(0)
	s_waitcnt_vscnt null, 0x0
	ds_write_b32 v0, v112
	s_trap 2
.LBB10_178:                             ;   in Loop: Header=BB10_168 Depth=2
	s_or_b32 exec_lo, exec_lo, s12
.LBB10_179:                             ;   in Loop: Header=BB10_168 Depth=2
	s_or_b32 exec_lo, exec_lo, s25
.LBB10_180:                             ;   in Loop: Header=BB10_168 Depth=2
	s_or_b32 exec_lo, exec_lo, s24
	v_cmp_lt_u32_e32 vcc_lo, 7, v38
	s_mov_b32 s12, -1
	s_cmp_lg_u32 vcc_lo, exec_lo
	s_cbranch_scc0 .LBB10_196
; %bb.181:                              ;   in Loop: Header=BB10_168 Depth=2
	s_mov_b32 s24, exec_lo
	s_waitcnt vmcnt(0)
	flat_store_byte v[66:67], v10
	v_cmpx_ne_u32_e32 1, v38
	s_cbranch_execz .LBB10_183
; %bb.182:                              ;   in Loop: Header=BB10_168 Depth=2
	v_lshrrev_b32_e32 v11, 8, v10
	flat_store_byte v[66:67], v11 offset:1
.LBB10_183:                             ;   in Loop: Header=BB10_168 Depth=2
	s_or_b32 exec_lo, exec_lo, s24
	s_mov_b32 s24, exec_lo
	v_cmpx_lt_u32_e32 2, v38
	s_cbranch_execz .LBB10_185
; %bb.184:                              ;   in Loop: Header=BB10_168 Depth=2
	flat_store_byte_d16_hi v[66:67], v10 offset:2
.LBB10_185:                             ;   in Loop: Header=BB10_168 Depth=2
	s_or_b32 exec_lo, exec_lo, s24
	s_mov_b32 s24, exec_lo
	v_cmpx_lt_u32_e32 3, v38
	s_cbranch_execz .LBB10_187
; %bb.186:                              ;   in Loop: Header=BB10_168 Depth=2
	v_lshrrev_b32_e32 v11, 24, v10
	flat_store_byte v[66:67], v11 offset:3
.LBB10_187:                             ;   in Loop: Header=BB10_168 Depth=2
	s_or_b32 exec_lo, exec_lo, s24
	s_mov_b32 s24, exec_lo
	v_cmpx_lt_u32_e32 4, v38
	s_cbranch_execz .LBB10_189
; %bb.188:                              ;   in Loop: Header=BB10_168 Depth=2
	flat_store_byte v[66:67], v12 offset:4
.LBB10_189:                             ;   in Loop: Header=BB10_168 Depth=2
	s_or_b32 exec_lo, exec_lo, s24
	s_mov_b32 s24, exec_lo
	v_cmpx_lt_u32_e32 5, v38
	s_cbranch_execz .LBB10_191
; %bb.190:                              ;   in Loop: Header=BB10_168 Depth=2
	v_lshrrev_b32_e32 v11, 8, v12
	flat_store_byte v[66:67], v11 offset:5
.LBB10_191:                             ;   in Loop: Header=BB10_168 Depth=2
	s_or_b32 exec_lo, exec_lo, s24
	s_mov_b32 s24, exec_lo
	v_cmpx_lt_u32_e32 6, v38
	s_cbranch_execz .LBB10_193
; %bb.192:                              ;   in Loop: Header=BB10_168 Depth=2
	flat_store_byte_d16_hi v[66:67], v12 offset:6
.LBB10_193:                             ;   in Loop: Header=BB10_168 Depth=2
	s_or_b32 exec_lo, exec_lo, s24
	s_and_saveexec_b32 s12, vcc_lo
	s_cbranch_execz .LBB10_195
; %bb.194:                              ;   in Loop: Header=BB10_168 Depth=2
	v_lshrrev_b32_e32 v11, 24, v12
	flat_store_byte v[66:67], v11 offset:7
.LBB10_195:                             ;   in Loop: Header=BB10_168 Depth=2
	s_or_b32 exec_lo, exec_lo, s12
	s_mov_b32 s12, 0
.LBB10_196:                             ;   in Loop: Header=BB10_168 Depth=2
	s_and_b32 vcc_lo, exec_lo, s12
	s_cbranch_vccz .LBB10_167
; %bb.197:                              ;   in Loop: Header=BB10_168 Depth=2
	s_waitcnt vmcnt(0)
	v_mov_b32_e32 v11, v12
	global_store_dwordx2 v[66:67], v[10:11], off
	s_branch .LBB10_167
.LBB10_198:                             ;   in Loop: Header=BB10_70 Depth=1
	s_or_b32 exec_lo, exec_lo, s23
	s_or_b32 exec_lo, exec_lo, s22
	s_and_saveexec_b32 s12, s9
	s_cbranch_execz .LBB10_109
.LBB10_199:                             ;   in Loop: Header=BB10_70 Depth=1
	s_and_saveexec_b32 s22, s18
	s_xor_b32 s22, exec_lo, s22
	s_cbranch_execz .LBB10_244
; %bb.200:                              ;   in Loop: Header=BB10_70 Depth=1
	s_and_saveexec_b32 s23, s11
	s_cbranch_execz .LBB10_243
; %bb.201:                              ;   in Loop: Header=BB10_70 Depth=1
	s_mov_b32 s25, exec_lo
	s_mov_b32 s24, exec_lo
	v_mbcnt_lo_u32_b32 v10, s25, 0
	s_waitcnt vmcnt(0) lgkmcnt(0)
	s_waitcnt_vscnt null, 0x0
	buffer_gl1_inv
	buffer_gl0_inv
	v_cmpx_eq_u32_e32 0, v10
	s_cbranch_execz .LBB10_203
; %bb.202:                              ;   in Loop: Header=BB10_70 Depth=1
	s_bcnt1_i32_b32 s25, s25
	v_mov_b32_e32 v38, s25
	ds_add_u64 v0, v[38:39]
	s_trap 2
.LBB10_203:                             ;   in Loop: Header=BB10_70 Depth=1
	s_or_b32 exec_lo, exec_lo, s24
	s_trap 2
	ds_read_b64 v[10:11], v0
	s_waitcnt lgkmcnt(0)
	buffer_gl0_inv
	v_add_co_u32 v36, vcc_lo, v36, v83
	v_add_co_ci_u32_e64 v37, null, 0, v37, vcc_lo
	s_mov_b32 s24, exec_lo
	v_cmpx_lt_u64_e64 v[10:11], v[36:37]
	s_cbranch_execz .LBB10_242
; %bb.204:                              ;   in Loop: Header=BB10_70 Depth=1
	s_mov_b32 s25, 0
	s_mov_b32 s28, 0
                                        ; implicit-def: $sgpr26
                                        ; implicit-def: $sgpr27
	s_inst_prefetch 0x1
	s_branch .LBB10_206
	.p2align	6
.LBB10_205:                             ;   in Loop: Header=BB10_206 Depth=2
	s_or_b32 exec_lo, exec_lo, s40
	s_and_b32 s29, exec_lo, s41
	s_or_b32 s25, s29, s25
	s_andn2_b32 s26, s26, exec_lo
	s_and_b32 s29, s27, exec_lo
	s_or_b32 s26, s26, s29
	s_andn2_b32 exec_lo, exec_lo, s25
	s_cbranch_execz .LBB10_240
.LBB10_206:                             ;   Parent Loop BB10_70 Depth=1
                                        ; =>  This Inner Loop Header: Depth=2
	s_add_i32 s28, s28, 1
	s_cmpk_lg_i32 s28, 0x2710
	s_cselect_b32 s29, -1, 0
	s_and_b32 vcc_lo, exec_lo, s29
	s_cbranch_vccz .LBB10_208
; %bb.207:                              ;   in Loop: Header=BB10_206 Depth=2
	s_mov_b32 s41, -1
	s_or_b32 s27, s27, exec_lo
	s_and_saveexec_b32 s40, s29
	s_cbranch_execz .LBB10_205
	s_branch .LBB10_209
	.p2align	6
.LBB10_208:                             ;   in Loop: Header=BB10_206 Depth=2
	s_trap 2
	ds_read_b64 v[10:11], v0
	s_andn2_b32 s29, s29, exec_lo
	s_mov_b32 s28, 0
	s_waitcnt lgkmcnt(0)
	flat_load_dword v10, v[10:11] glc dlc
	s_waitcnt vmcnt(0) lgkmcnt(0)
	buffer_gl1_inv
	buffer_gl0_inv
	v_cmp_eq_u32_e32 vcc_lo, 0, v10
	s_and_b32 s40, vcc_lo, exec_lo
	s_or_b32 s29, s29, s40
	s_mov_b32 s41, -1
	s_or_b32 s27, s27, exec_lo
	s_and_saveexec_b32 s40, s29
	s_cbranch_execz .LBB10_205
.LBB10_209:                             ;   in Loop: Header=BB10_206 Depth=2
	s_sleep 1
	s_trap 2
	ds_read_b64 v[10:11], v0
	s_waitcnt lgkmcnt(0)
	buffer_gl0_inv
	s_andn2_b32 s27, s27, exec_lo
	v_cmp_ge_u64_e32 vcc_lo, v[10:11], v[36:37]
	s_orn2_b32 s41, vcc_lo, exec_lo
	s_branch .LBB10_205
.LBB10_210:                             ;   in Loop: Header=BB10_70 Depth=1
	s_or_b32 exec_lo, exec_lo, s23
	s_or_b32 exec_lo, exec_lo, s22
	s_and_saveexec_b32 s12, s9
	s_cbranch_execz .LBB10_118
.LBB10_211:                             ;   in Loop: Header=BB10_70 Depth=1
	s_and_saveexec_b32 s22, s18
	s_xor_b32 s22, exec_lo, s22
	s_cbranch_execz .LBB10_251
; %bb.212:                              ;   in Loop: Header=BB10_70 Depth=1
	s_and_saveexec_b32 s23, s11
	s_cbranch_execz .LBB10_250
; %bb.213:                              ;   in Loop: Header=BB10_70 Depth=1
	s_mov_b32 s25, exec_lo
	s_mov_b32 s24, exec_lo
	s_waitcnt vmcnt(0)
	v_mbcnt_lo_u32_b32 v10, s25, 0
	s_waitcnt lgkmcnt(0)
	s_waitcnt_vscnt null, 0x0
	buffer_gl1_inv
	buffer_gl0_inv
	v_cmpx_eq_u32_e32 0, v10
	s_cbranch_execz .LBB10_215
; %bb.214:                              ;   in Loop: Header=BB10_70 Depth=1
	s_bcnt1_i32_b32 s25, s25
	v_mov_b32_e32 v38, s25
	ds_add_u64 v0, v[38:39]
	s_trap 2
.LBB10_215:                             ;   in Loop: Header=BB10_70 Depth=1
	s_or_b32 exec_lo, exec_lo, s24
	s_trap 2
	ds_read_b64 v[10:11], v0
	s_waitcnt lgkmcnt(0)
	buffer_gl0_inv
	v_add_co_u32 v36, vcc_lo, v36, v83
	v_add_co_ci_u32_e64 v37, null, 0, v37, vcc_lo
	s_mov_b32 s24, exec_lo
	v_cmpx_lt_u64_e64 v[10:11], v[36:37]
	s_cbranch_execz .LBB10_249
; %bb.216:                              ;   in Loop: Header=BB10_70 Depth=1
	s_mov_b32 s25, 0
	s_mov_b32 s28, 0
                                        ; implicit-def: $sgpr26
                                        ; implicit-def: $sgpr27
	s_inst_prefetch 0x1
	s_branch .LBB10_218
	.p2align	6
.LBB10_217:                             ;   in Loop: Header=BB10_218 Depth=2
	s_or_b32 exec_lo, exec_lo, s40
	s_and_b32 s29, exec_lo, s41
	s_or_b32 s25, s29, s25
	s_andn2_b32 s26, s26, exec_lo
	s_and_b32 s29, s27, exec_lo
	s_or_b32 s26, s26, s29
	s_andn2_b32 exec_lo, exec_lo, s25
	s_cbranch_execz .LBB10_247
.LBB10_218:                             ;   Parent Loop BB10_70 Depth=1
                                        ; =>  This Inner Loop Header: Depth=2
	s_add_i32 s28, s28, 1
	s_cmpk_lg_i32 s28, 0x2710
	s_cselect_b32 s29, -1, 0
	s_and_b32 vcc_lo, exec_lo, s29
	s_cbranch_vccz .LBB10_220
; %bb.219:                              ;   in Loop: Header=BB10_218 Depth=2
	s_mov_b32 s41, -1
	s_or_b32 s27, s27, exec_lo
	s_and_saveexec_b32 s40, s29
	s_cbranch_execz .LBB10_217
	s_branch .LBB10_221
	.p2align	6
.LBB10_220:                             ;   in Loop: Header=BB10_218 Depth=2
	s_trap 2
	ds_read_b64 v[10:11], v0
	s_andn2_b32 s29, s29, exec_lo
	s_mov_b32 s28, 0
	s_waitcnt lgkmcnt(0)
	flat_load_dword v10, v[10:11] glc dlc
	s_waitcnt vmcnt(0) lgkmcnt(0)
	buffer_gl1_inv
	buffer_gl0_inv
	v_cmp_eq_u32_e32 vcc_lo, 0, v10
	s_and_b32 s40, vcc_lo, exec_lo
	s_or_b32 s29, s29, s40
	s_mov_b32 s41, -1
	s_or_b32 s27, s27, exec_lo
	s_and_saveexec_b32 s40, s29
	s_cbranch_execz .LBB10_217
.LBB10_221:                             ;   in Loop: Header=BB10_218 Depth=2
	s_sleep 1
	s_trap 2
	ds_read_b64 v[10:11], v0
	s_waitcnt lgkmcnt(0)
	buffer_gl0_inv
	s_andn2_b32 s27, s27, exec_lo
	v_cmp_ge_u64_e32 vcc_lo, v[10:11], v[36:37]
	s_orn2_b32 s41, vcc_lo, exec_lo
	s_branch .LBB10_217
.LBB10_222:                             ;   in Loop: Header=BB10_70 Depth=1
	s_or_b32 exec_lo, exec_lo, s24
	s_xor_b32 s12, s25, -1
	s_and_saveexec_b32 s24, s12
	s_xor_b32 s12, exec_lo, s24
	s_cbranch_execz .LBB10_224
; %bb.223:                              ;   in Loop: Header=BB10_70 Depth=1
	v_mov_b32_e32 v103, 1
	s_waitcnt vmcnt(0) lgkmcnt(0)
	s_waitcnt_vscnt null, 0x0
	ds_write_b32 v0, v9
	s_trap 2
.LBB10_224:                             ;   in Loop: Header=BB10_70 Depth=1
	s_or_b32 exec_lo, exec_lo, s12
.LBB10_225:                             ;   in Loop: Header=BB10_70 Depth=1
	s_or_b32 exec_lo, exec_lo, s23
	s_and_saveexec_b32 s12, s8
	s_cbranch_execz .LBB10_227
; %bb.226:                              ;   in Loop: Header=BB10_70 Depth=1
	v_and_b32_e32 v38, 0x7ffffff8, v8
	v_cmp_eq_u64_e32 vcc_lo, 0x7ffffff8, v[38:39]
	v_cndmask_b32_e64 v9, v13, s19, vcc_lo
	v_and_b32_e32 v13, 7, v8
	v_lshlrev_b32_e32 v8, 4, v9
	v_mad_u64_u32 v[66:67], null, v13, 24, v[6:7]
	v_ashrrev_i32_e32 v9, 31, v8
	flat_store_dwordx2 v[66:67], v[8:9] offset:8
	s_waitcnt_vscnt null, 0x0
.LBB10_227:                             ;   in Loop: Header=BB10_70 Depth=1
	s_or_b32 exec_lo, exec_lo, s12
	v_mov_b32_e32 v8, v10
	v_mov_b32_e32 v9, v11
.LBB10_228:                             ;   in Loop: Header=BB10_70 Depth=1
	s_or_b32 exec_lo, exec_lo, s22
	s_and_saveexec_b32 s12, s9
	s_cbranch_execz .LBB10_261
; %bb.229:                              ;   in Loop: Header=BB10_70 Depth=1
	s_and_saveexec_b32 s22, s18
	s_xor_b32 s22, exec_lo, s22
	s_cbranch_execz .LBB10_258
; %bb.230:                              ;   in Loop: Header=BB10_70 Depth=1
	s_and_saveexec_b32 s23, s11
	s_cbranch_execz .LBB10_257
; %bb.231:                              ;   in Loop: Header=BB10_70 Depth=1
	s_mov_b32 s25, exec_lo
	s_mov_b32 s24, exec_lo
	v_mbcnt_lo_u32_b32 v10, s25, 0
	s_waitcnt vmcnt(0) lgkmcnt(0)
	s_waitcnt_vscnt null, 0x0
	buffer_gl1_inv
	buffer_gl0_inv
	v_cmpx_eq_u32_e32 0, v10
	s_cbranch_execz .LBB10_233
; %bb.232:                              ;   in Loop: Header=BB10_70 Depth=1
	s_bcnt1_i32_b32 s25, s25
	v_mov_b32_e32 v38, s25
	ds_add_u64 v0, v[38:39]
	s_trap 2
.LBB10_233:                             ;   in Loop: Header=BB10_70 Depth=1
	s_or_b32 exec_lo, exec_lo, s24
	s_trap 2
	ds_read_b64 v[10:11], v0
	s_waitcnt lgkmcnt(0)
	buffer_gl0_inv
	v_add_co_u32 v36, vcc_lo, v36, v83
	v_add_co_ci_u32_e64 v37, null, 0, v37, vcc_lo
	s_mov_b32 s24, exec_lo
	v_cmpx_lt_u64_e64 v[10:11], v[36:37]
	s_cbranch_execz .LBB10_256
; %bb.234:                              ;   in Loop: Header=BB10_70 Depth=1
	s_mov_b32 s25, 0
	s_mov_b32 s28, 0
                                        ; implicit-def: $sgpr26
                                        ; implicit-def: $sgpr27
	s_inst_prefetch 0x1
	s_branch .LBB10_236
	.p2align	6
.LBB10_235:                             ;   in Loop: Header=BB10_236 Depth=2
	s_or_b32 exec_lo, exec_lo, s40
	s_and_b32 s29, exec_lo, s41
	s_or_b32 s25, s29, s25
	s_andn2_b32 s26, s26, exec_lo
	s_and_b32 s29, s27, exec_lo
	s_or_b32 s26, s26, s29
	s_andn2_b32 exec_lo, exec_lo, s25
	s_cbranch_execz .LBB10_254
.LBB10_236:                             ;   Parent Loop BB10_70 Depth=1
                                        ; =>  This Inner Loop Header: Depth=2
	s_add_i32 s28, s28, 1
	s_cmpk_lg_i32 s28, 0x2710
	s_cselect_b32 s29, -1, 0
	s_and_b32 vcc_lo, exec_lo, s29
	s_cbranch_vccz .LBB10_238
; %bb.237:                              ;   in Loop: Header=BB10_236 Depth=2
	s_mov_b32 s41, -1
	s_or_b32 s27, s27, exec_lo
	s_and_saveexec_b32 s40, s29
	s_cbranch_execz .LBB10_235
	s_branch .LBB10_239
	.p2align	6
.LBB10_238:                             ;   in Loop: Header=BB10_236 Depth=2
	s_trap 2
	ds_read_b64 v[10:11], v0
	s_andn2_b32 s29, s29, exec_lo
	s_mov_b32 s28, 0
	s_waitcnt lgkmcnt(0)
	flat_load_dword v10, v[10:11] glc dlc
	s_waitcnt vmcnt(0) lgkmcnt(0)
	buffer_gl1_inv
	buffer_gl0_inv
	v_cmp_eq_u32_e32 vcc_lo, 0, v10
	s_and_b32 s40, vcc_lo, exec_lo
	s_or_b32 s29, s29, s40
	s_mov_b32 s41, -1
	s_or_b32 s27, s27, exec_lo
	s_and_saveexec_b32 s40, s29
	s_cbranch_execz .LBB10_235
.LBB10_239:                             ;   in Loop: Header=BB10_236 Depth=2
	s_sleep 1
	s_trap 2
	ds_read_b64 v[10:11], v0
	s_waitcnt lgkmcnt(0)
	buffer_gl0_inv
	s_andn2_b32 s27, s27, exec_lo
	v_cmp_ge_u64_e32 vcc_lo, v[10:11], v[36:37]
	s_orn2_b32 s41, vcc_lo, exec_lo
	s_branch .LBB10_235
.LBB10_240:                             ;   in Loop: Header=BB10_70 Depth=1
	s_inst_prefetch 0x2
	s_or_b32 exec_lo, exec_lo, s25
	s_and_saveexec_b32 s25, s26
	s_xor_b32 s25, exec_lo, s25
	s_cbranch_execz .LBB10_242
; %bb.241:                              ;   in Loop: Header=BB10_70 Depth=1
	ds_write_b32 v0, v102
	s_trap 2
.LBB10_242:                             ;   in Loop: Header=BB10_70 Depth=1
	s_or_b32 exec_lo, exec_lo, s24
	;;#ASMSTART
	s_wakeup
	;;#ASMEND
.LBB10_243:                             ;   in Loop: Header=BB10_70 Depth=1
	s_or_b32 exec_lo, exec_lo, s23
.LBB10_244:                             ;   in Loop: Header=BB10_70 Depth=1
	s_andn2_saveexec_b32 s22, s22
	s_cbranch_execz .LBB10_246
; %bb.245:                              ;   in Loop: Header=BB10_70 Depth=1
	s_waitcnt vmcnt(0) lgkmcnt(0)
	s_waitcnt_vscnt null, 0x0
	buffer_gl1_inv
	buffer_gl0_inv
	s_barrier
.LBB10_246:                             ;   in Loop: Header=BB10_70 Depth=1
	s_or_b32 exec_lo, exec_lo, s22
	s_or_b32 exec_lo, exec_lo, s12
	s_and_saveexec_b32 s12, s10
	s_cbranch_execnz .LBB10_110
	s_branch .LBB10_111
.LBB10_247:                             ;   in Loop: Header=BB10_70 Depth=1
	s_inst_prefetch 0x2
	s_or_b32 exec_lo, exec_lo, s25
	s_and_saveexec_b32 s25, s26
	s_xor_b32 s25, exec_lo, s25
	s_cbranch_execz .LBB10_249
; %bb.248:                              ;   in Loop: Header=BB10_70 Depth=1
	ds_write_b32 v0, v102
	s_trap 2
.LBB10_249:                             ;   in Loop: Header=BB10_70 Depth=1
	s_or_b32 exec_lo, exec_lo, s24
	;;#ASMSTART
	s_wakeup
	;;#ASMEND
.LBB10_250:                             ;   in Loop: Header=BB10_70 Depth=1
	s_or_b32 exec_lo, exec_lo, s23
.LBB10_251:                             ;   in Loop: Header=BB10_70 Depth=1
	s_andn2_saveexec_b32 s22, s22
	s_cbranch_execz .LBB10_253
; %bb.252:                              ;   in Loop: Header=BB10_70 Depth=1
	s_waitcnt vmcnt(0) lgkmcnt(0)
	s_waitcnt_vscnt null, 0x0
	buffer_gl1_inv
	buffer_gl0_inv
	s_barrier
.LBB10_253:                             ;   in Loop: Header=BB10_70 Depth=1
	s_or_b32 exec_lo, exec_lo, s22
	s_or_b32 exec_lo, exec_lo, s12
	s_and_saveexec_b32 s12, s10
	s_cbranch_execnz .LBB10_119
	s_branch .LBB10_120
.LBB10_254:                             ;   in Loop: Header=BB10_70 Depth=1
	s_inst_prefetch 0x2
	s_or_b32 exec_lo, exec_lo, s25
	s_and_saveexec_b32 s25, s26
	s_xor_b32 s25, exec_lo, s25
	s_cbranch_execz .LBB10_256
; %bb.255:                              ;   in Loop: Header=BB10_70 Depth=1
	ds_write_b32 v0, v102
	s_trap 2
.LBB10_256:                             ;   in Loop: Header=BB10_70 Depth=1
	s_or_b32 exec_lo, exec_lo, s24
	;;#ASMSTART
	s_wakeup
	;;#ASMEND
.LBB10_257:                             ;   in Loop: Header=BB10_70 Depth=1
	s_or_b32 exec_lo, exec_lo, s23
.LBB10_258:                             ;   in Loop: Header=BB10_70 Depth=1
	s_andn2_saveexec_b32 s22, s22
	s_cbranch_execz .LBB10_260
; %bb.259:                              ;   in Loop: Header=BB10_70 Depth=1
	s_waitcnt vmcnt(0) lgkmcnt(0)
	s_waitcnt_vscnt null, 0x0
	buffer_gl1_inv
	buffer_gl0_inv
	s_barrier
.LBB10_260:                             ;   in Loop: Header=BB10_70 Depth=1
	s_or_b32 exec_lo, exec_lo, s22
.LBB10_261:                             ;   in Loop: Header=BB10_70 Depth=1
	s_or_b32 exec_lo, exec_lo, s12
	v_sub_nc_u32_e32 v71, v12, v84
	v_mov_b32_e32 v66, v0
	s_mov_b32 s22, exec_lo
	v_cmpx_lt_i32_e32 0, v71
	s_cbranch_execz .LBB10_287
; %bb.262:                              ;   in Loop: Header=BB10_70 Depth=1
	v_and_b32_e32 v10, 7, v26
	v_mov_b32_e32 v67, 0
	v_add_nc_u32_e32 v112, v3, v12
	v_mov_b32_e32 v68, 0
	v_mov_b32_e32 v113, v96
	v_mul_lo_u32 v10, v10, s19
	v_mov_b32_e32 v66, v0
	s_mov_b32 s23, 0
	v_ashrrev_i32_e32 v11, 31, v10
	v_lshlrev_b64 v[69:70], 4, v[10:11]
	v_add_nc_u32_e32 v11, 1, v26
	v_add_co_u32 v69, vcc_lo, v100, v69
	v_add_co_ci_u32_e64 v70, null, v101, v70, vcc_lo
	s_branch .LBB10_264
.LBB10_263:                             ;   in Loop: Header=BB10_264 Depth=2
	v_sub_nc_u32_e32 v71, v71, v85
	v_add_co_u32 v67, vcc_lo, v67, v85
	v_add_co_ci_u32_e64 v68, null, 0, v68, vcc_lo
	v_cmp_gt_i32_e32 vcc_lo, 1, v71
	v_add_co_u32 v69, s12, v69, v52
	v_add_nc_u32_e32 v66, v66, v2
	v_add_nc_u32_e32 v113, v113, v98
	v_add_co_ci_u32_e64 v70, null, v70, v53, s12
	s_or_b32 s23, vcc_lo, s23
	s_andn2_b32 exec_lo, exec_lo, s23
	s_cbranch_execz .LBB10_286
.LBB10_264:                             ;   Parent Loop BB10_70 Depth=1
                                        ; =>  This Inner Loop Header: Depth=2
	v_add_co_u32 v38, vcc_lo, v54, v67
	v_add_co_ci_u32_e64 v13, null, v55, v68, vcc_lo
	v_min_u32_e32 v80, 8, v71
	v_and_b32_e32 v12, -4, v38
	v_and_b32_e32 v38, 3, v38
	v_mov_b32_e32 v81, 0
	s_mov_b32 s12, exec_lo
	global_load_dword v10, v[12:13], off slc
	v_add_nc_u32_e32 v38, v38, v80
	v_mov_b32_e32 v80, 0
	v_cmpx_lt_u32_e32 4, v38
	s_cbranch_execz .LBB10_266
; %bb.265:                              ;   in Loop: Header=BB10_264 Depth=2
	global_load_dword v81, v[12:13], off offset:4 slc
.LBB10_266:                             ;   in Loop: Header=BB10_264 Depth=2
	s_or_b32 exec_lo, exec_lo, s12
	s_mov_b32 s12, exec_lo
	v_cmpx_lt_u64_e32 8, v[38:39]
	s_cbranch_execz .LBB10_268
; %bb.267:                              ;   in Loop: Header=BB10_264 Depth=2
	global_load_dword v80, v[12:13], off offset:8 slc
.LBB10_268:                             ;   in Loop: Header=BB10_264 Depth=2
	s_or_b32 exec_lo, exec_lo, s12
	s_waitcnt vmcnt(0)
	v_alignbit_b32 v12, v80, v81, v113
	v_cmp_lt_u32_e32 vcc_lo, 7, v71
	v_add_co_u32 v80, s12, v1, v67
	v_alignbit_b32 v10, v81, v10, v113
	v_mov_b32_e32 v13, v11
	v_add_co_ci_u32_e64 v81, null, v99, v68, s12
	s_cmp_lg_u32 vcc_lo, exec_lo
	s_mov_b32 s12, -1
	global_store_dwordx4 v[69:70], v[10:13], off
	s_cbranch_scc0 .LBB10_284
; %bb.269:                              ;   in Loop: Header=BB10_264 Depth=2
	s_mov_b32 s24, exec_lo
	flat_store_byte v[80:81], v10
	v_cmpx_ne_u32_e64 v112, v67
	s_cbranch_execz .LBB10_271
; %bb.270:                              ;   in Loop: Header=BB10_264 Depth=2
	v_lshrrev_b32_e32 v13, 8, v10
	flat_store_byte v[80:81], v13 offset:1
.LBB10_271:                             ;   in Loop: Header=BB10_264 Depth=2
	s_or_b32 exec_lo, exec_lo, s24
	s_mov_b32 s24, exec_lo
	v_cmpx_lt_u32_e32 2, v71
	s_cbranch_execz .LBB10_273
; %bb.272:                              ;   in Loop: Header=BB10_264 Depth=2
	flat_store_byte_d16_hi v[80:81], v10 offset:2
.LBB10_273:                             ;   in Loop: Header=BB10_264 Depth=2
	s_or_b32 exec_lo, exec_lo, s24
	s_mov_b32 s24, exec_lo
	v_cmpx_lt_u32_e32 3, v71
	s_cbranch_execz .LBB10_275
; %bb.274:                              ;   in Loop: Header=BB10_264 Depth=2
	v_lshrrev_b32_e32 v13, 24, v10
	flat_store_byte v[80:81], v13 offset:3
.LBB10_275:                             ;   in Loop: Header=BB10_264 Depth=2
	s_or_b32 exec_lo, exec_lo, s24
	s_mov_b32 s24, exec_lo
	v_cmpx_lt_u32_e32 4, v71
	s_cbranch_execz .LBB10_277
; %bb.276:                              ;   in Loop: Header=BB10_264 Depth=2
	flat_store_byte v[80:81], v12 offset:4
.LBB10_277:                             ;   in Loop: Header=BB10_264 Depth=2
	s_or_b32 exec_lo, exec_lo, s24
	s_mov_b32 s24, exec_lo
	v_cmpx_lt_u32_e32 5, v71
	s_cbranch_execz .LBB10_279
; %bb.278:                              ;   in Loop: Header=BB10_264 Depth=2
	v_lshrrev_b32_e32 v13, 8, v12
	flat_store_byte v[80:81], v13 offset:5
.LBB10_279:                             ;   in Loop: Header=BB10_264 Depth=2
	s_or_b32 exec_lo, exec_lo, s24
	s_mov_b32 s24, exec_lo
	v_cmpx_lt_u32_e32 6, v71
	s_cbranch_execz .LBB10_281
; %bb.280:                              ;   in Loop: Header=BB10_264 Depth=2
	flat_store_byte_d16_hi v[80:81], v12 offset:6
.LBB10_281:                             ;   in Loop: Header=BB10_264 Depth=2
	s_or_b32 exec_lo, exec_lo, s24
	s_and_saveexec_b32 s12, vcc_lo
	s_cbranch_execz .LBB10_283
; %bb.282:                              ;   in Loop: Header=BB10_264 Depth=2
	v_lshrrev_b32_e32 v13, 24, v12
	flat_store_byte v[80:81], v13 offset:7
.LBB10_283:                             ;   in Loop: Header=BB10_264 Depth=2
	s_or_b32 exec_lo, exec_lo, s12
	s_mov_b32 s12, 0
.LBB10_284:                             ;   in Loop: Header=BB10_264 Depth=2
	s_and_b32 vcc_lo, exec_lo, s12
	s_cbranch_vccz .LBB10_263
; %bb.285:                              ;   in Loop: Header=BB10_264 Depth=2
	v_mov_b32_e32 v114, v10
	v_mov_b32_e32 v115, v12
	global_store_dwordx2 v[80:81], v[114:115], off
	s_branch .LBB10_263
.LBB10_286:                             ;   in Loop: Header=BB10_70 Depth=1
	s_or_b32 exec_lo, exec_lo, s23
.LBB10_287:                             ;   in Loop: Header=BB10_70 Depth=1
	s_or_b32 exec_lo, exec_lo, s22
	v_and_b32_e32 v38, 0x7ffffff8, v26
	v_cmp_gt_i32_e64 s12, s19, v66
	v_cmp_eq_u64_e32 vcc_lo, 0x7ffffff8, v[38:39]
	s_and_b32 s12, vcc_lo, s12
	s_and_saveexec_b32 s22, s12
	s_cbranch_execz .LBB10_290
; %bb.288:                              ;   in Loop: Header=BB10_70 Depth=1
	v_and_b32_e32 v10, 7, v26
	v_ashrrev_i32_e32 v67, 31, v66
	s_mov_b32 s23, 0
	v_mul_lo_u32 v10, v10, s19
	v_lshlrev_b64 v[12:13], 4, v[66:67]
	v_ashrrev_i32_e32 v11, 31, v10
	v_lshlrev_b64 v[67:68], 4, v[10:11]
	v_add_nc_u32_e32 v11, 1, v26
	v_mov_b32_e32 v10, v39
	v_add_co_u32 v12, vcc_lo, v12, v67
	v_add_co_ci_u32_e64 v13, null, v13, v68, vcc_lo
	v_add_co_u32 v67, vcc_lo, v24, v12
	v_add_co_ci_u32_e64 v68, null, v25, v13, vcc_lo
.LBB10_289:                             ;   Parent Loop BB10_70 Depth=1
                                        ; =>  This Inner Loop Header: Depth=2
	v_mov_b32_e32 v12, v10
	v_add_nc_u32_e32 v66, v66, v2
	v_mov_b32_e32 v13, v11
	v_cmp_le_i32_e32 vcc_lo, s19, v66
	global_store_dwordx4 v[67:68], v[10:13], off
	v_add_co_u32 v67, s12, v67, v52
	v_add_co_ci_u32_e64 v68, null, v68, v53, s12
	s_or_b32 s23, vcc_lo, s23
	s_andn2_b32 exec_lo, exec_lo, s23
	s_cbranch_execnz .LBB10_289
.LBB10_290:                             ;   in Loop: Header=BB10_70 Depth=1
	s_or_b32 exec_lo, exec_lo, s22
	v_add_co_u32 v26, vcc_lo, v26, 1
	v_add_co_ci_u32_e64 v27, null, 0, v27, vcc_lo
                                        ; implicit-def: $vgpr12
                                        ; implicit-def: $vgpr13
.LBB10_291:                             ;   in Loop: Header=BB10_70 Depth=1
	s_andn2_saveexec_b32 s21, s21
	s_cbranch_execz .LBB10_68
; %bb.292:                              ;   in Loop: Header=BB10_70 Depth=1
	s_and_saveexec_b32 s22, s7
	s_cbranch_execz .LBB10_308
; %bb.293:                              ;   in Loop: Header=BB10_70 Depth=1
	v_add_co_u32 v10, vcc_lo, v8, 1
	v_add_co_ci_u32_e64 v11, null, 0, v9, vcc_lo
	s_waitcnt vmcnt(0) lgkmcnt(0)
	v_add_co_u32 v66, vcc_lo, v50, 8
	v_add_co_ci_u32_e64 v67, null, 0, v51, vcc_lo
	s_mov_b32 s23, exec_lo
	v_cmpx_lt_u64_e64 v[66:67], v[10:11]
	s_cbranch_execz .LBB10_305
; %bb.294:                              ;   in Loop: Header=BB10_70 Depth=1
	s_mov_b32 s24, 0
	s_mov_b32 s28, 0
	v_cmp_eq_u32_e32 vcc_lo, 0, v103
                                        ; implicit-def: $sgpr25
                                        ; implicit-def: $sgpr26
                                        ; implicit-def: $sgpr27
	s_branch .LBB10_297
.LBB10_295:                             ;   in Loop: Header=BB10_297 Depth=2
	s_or_b32 exec_lo, exec_lo, s43
	s_andn2_b32 s12, s27, exec_lo
	s_and_b32 s27, s41, exec_lo
	s_andn2_b32 s26, s26, exec_lo
	s_and_b32 s40, s40, exec_lo
	s_or_b32 s27, s12, s27
	s_or_b32 s26, s26, s40
.LBB10_296:                             ;   in Loop: Header=BB10_297 Depth=2
	s_or_b32 exec_lo, exec_lo, s29
	s_and_b32 s12, exec_lo, s26
	s_or_b32 s24, s12, s24
	s_andn2_b32 s12, s25, exec_lo
	s_and_b32 s25, s27, exec_lo
	s_or_b32 s25, s12, s25
	s_andn2_b32 exec_lo, exec_lo, s24
	s_cbranch_execz .LBB10_302
.LBB10_297:                             ;   Parent Loop BB10_70 Depth=1
                                        ; =>  This Inner Loop Header: Depth=2
	s_sleep 1
	s_waitcnt vmcnt(0) lgkmcnt(0)
	flat_load_dwordx2 v[50:51], v[34:35] glc dlc
	v_mov_b32_e32 v103, 1
	s_or_b32 s27, s27, exec_lo
	s_or_b32 s26, s26, exec_lo
                                        ; implicit-def: $vgpr9
	s_and_saveexec_b32 s29, vcc_lo
	s_cbranch_execz .LBB10_296
; %bb.298:                              ;   in Loop: Header=BB10_297 Depth=2
	s_add_i32 s28, s28, 1
	s_mov_b32 s40, -1
	s_cmpk_lg_i32 s28, 0x2710
	s_mov_b32 s41, -1
	s_cselect_b32 s42, -1, 0
	s_cmpk_eq_i32 s28, 0x2710
                                        ; implicit-def: $vgpr9
	s_cbranch_scc1 .LBB10_300
; %bb.299:                              ;   in Loop: Header=BB10_297 Depth=2
	v_mov_b32_e32 v103, 1
	s_and_saveexec_b32 s43, s42
	s_cbranch_execz .LBB10_295
	s_branch .LBB10_301
.LBB10_300:                             ;   in Loop: Header=BB10_297 Depth=2
	s_trap 2
	ds_read_b64 v[66:67], v0
	s_andn2_b32 s28, s42, exec_lo
	s_mov_b32 s41, 0
	s_waitcnt vmcnt(0) lgkmcnt(0)
	s_waitcnt_vscnt null, 0x0
	flat_load_dword v9, v[66:67] glc dlc
	s_waitcnt vmcnt(0) lgkmcnt(0)
	buffer_gl1_inv
	buffer_gl0_inv
	v_cmp_eq_u32_e64 s12, 0, v9
	s_and_b32 s12, s12, exec_lo
	s_or_b32 s42, s28, s12
	s_mov_b32 s28, 0
	v_mov_b32_e32 v103, 1
	s_and_saveexec_b32 s43, s42
	s_cbranch_execz .LBB10_295
.LBB10_301:                             ;   in Loop: Header=BB10_297 Depth=2
	s_waitcnt vmcnt(0) lgkmcnt(0)
	v_add_co_u32 v66, s12, v50, 8
	v_add_co_ci_u32_e64 v67, null, 0, v51, s12
	v_mov_b32_e32 v103, 0
	s_or_b32 s41, s41, exec_lo
	v_cmp_ge_u64_e64 s12, v[66:67], v[10:11]
	s_orn2_b32 s40, s12, exec_lo
	s_branch .LBB10_295
.LBB10_302:                             ;   in Loop: Header=BB10_70 Depth=1
	s_or_b32 exec_lo, exec_lo, s24
	s_xor_b32 s12, s25, -1
	s_and_saveexec_b32 s24, s12
	s_xor_b32 s12, exec_lo, s24
	s_cbranch_execz .LBB10_304
; %bb.303:                              ;   in Loop: Header=BB10_70 Depth=1
	v_mov_b32_e32 v103, 1
	s_waitcnt vmcnt(0) lgkmcnt(0)
	s_waitcnt_vscnt null, 0x0
	ds_write_b32 v0, v9
	s_trap 2
.LBB10_304:                             ;   in Loop: Header=BB10_70 Depth=1
	s_or_b32 exec_lo, exec_lo, s12
.LBB10_305:                             ;   in Loop: Header=BB10_70 Depth=1
	s_or_b32 exec_lo, exec_lo, s23
	s_and_saveexec_b32 s12, s8
	s_cbranch_execz .LBB10_307
; %bb.306:                              ;   in Loop: Header=BB10_70 Depth=1
	v_and_b32_e32 v38, 0x7ffffff8, v8
	v_cmp_eq_u64_e32 vcc_lo, 0x7ffffff8, v[38:39]
	v_cndmask_b32_e64 v9, v13, s19, vcc_lo
	v_and_b32_e32 v13, 7, v8
	v_lshlrev_b32_e32 v8, 4, v9
	v_mad_u64_u32 v[66:67], null, v13, 24, v[6:7]
	v_ashrrev_i32_e32 v9, 31, v8
	flat_store_dwordx2 v[66:67], v[8:9] offset:8
	s_waitcnt_vscnt null, 0x0
.LBB10_307:                             ;   in Loop: Header=BB10_70 Depth=1
	s_or_b32 exec_lo, exec_lo, s12
	v_mov_b32_e32 v8, v10
	v_mov_b32_e32 v9, v11
.LBB10_308:                             ;   in Loop: Header=BB10_70 Depth=1
	s_or_b32 exec_lo, exec_lo, s22
	s_and_saveexec_b32 s12, s9
	s_cbranch_execz .LBB10_327
; %bb.309:                              ;   in Loop: Header=BB10_70 Depth=1
	s_and_saveexec_b32 s22, s18
	s_xor_b32 s22, exec_lo, s22
	s_cbranch_execz .LBB10_324
; %bb.310:                              ;   in Loop: Header=BB10_70 Depth=1
	s_and_saveexec_b32 s23, s11
	s_cbranch_execz .LBB10_323
; %bb.311:                              ;   in Loop: Header=BB10_70 Depth=1
	s_mov_b32 s25, exec_lo
	s_mov_b32 s24, exec_lo
	v_mbcnt_lo_u32_b32 v10, s25, 0
	s_waitcnt vmcnt(0) lgkmcnt(0)
	s_waitcnt_vscnt null, 0x0
	buffer_gl1_inv
	buffer_gl0_inv
	v_cmpx_eq_u32_e32 0, v10
	s_cbranch_execz .LBB10_313
; %bb.312:                              ;   in Loop: Header=BB10_70 Depth=1
	s_bcnt1_i32_b32 s25, s25
	v_mov_b32_e32 v38, s25
	ds_add_u64 v0, v[38:39]
	s_trap 2
.LBB10_313:                             ;   in Loop: Header=BB10_70 Depth=1
	s_or_b32 exec_lo, exec_lo, s24
	s_trap 2
	ds_read_b64 v[10:11], v0
	s_waitcnt lgkmcnt(0)
	buffer_gl0_inv
	v_add_co_u32 v36, vcc_lo, v36, v83
	v_add_co_ci_u32_e64 v37, null, 0, v37, vcc_lo
	s_mov_b32 s24, exec_lo
	v_cmpx_lt_u64_e64 v[10:11], v[36:37]
	s_cbranch_execz .LBB10_322
; %bb.314:                              ;   in Loop: Header=BB10_70 Depth=1
	s_mov_b32 s25, 0
	s_mov_b32 s28, 0
                                        ; implicit-def: $sgpr26
                                        ; implicit-def: $sgpr27
	s_inst_prefetch 0x1
	s_branch .LBB10_316
	.p2align	6
.LBB10_315:                             ;   in Loop: Header=BB10_316 Depth=2
	s_or_b32 exec_lo, exec_lo, s40
	s_and_b32 s29, exec_lo, s41
	s_or_b32 s25, s29, s25
	s_andn2_b32 s26, s26, exec_lo
	s_and_b32 s29, s27, exec_lo
	s_or_b32 s26, s26, s29
	s_andn2_b32 exec_lo, exec_lo, s25
	s_cbranch_execz .LBB10_320
.LBB10_316:                             ;   Parent Loop BB10_70 Depth=1
                                        ; =>  This Inner Loop Header: Depth=2
	s_add_i32 s28, s28, 1
	s_cmpk_lg_i32 s28, 0x2710
	s_cselect_b32 s29, -1, 0
	s_and_b32 vcc_lo, exec_lo, s29
	s_cbranch_vccz .LBB10_318
; %bb.317:                              ;   in Loop: Header=BB10_316 Depth=2
	s_mov_b32 s41, -1
	s_or_b32 s27, s27, exec_lo
	s_and_saveexec_b32 s40, s29
	s_cbranch_execz .LBB10_315
	s_branch .LBB10_319
	.p2align	6
.LBB10_318:                             ;   in Loop: Header=BB10_316 Depth=2
	s_trap 2
	ds_read_b64 v[10:11], v0
	s_andn2_b32 s29, s29, exec_lo
	s_mov_b32 s28, 0
	s_waitcnt lgkmcnt(0)
	flat_load_dword v10, v[10:11] glc dlc
	s_waitcnt vmcnt(0) lgkmcnt(0)
	buffer_gl1_inv
	buffer_gl0_inv
	v_cmp_eq_u32_e32 vcc_lo, 0, v10
	s_and_b32 s40, vcc_lo, exec_lo
	s_or_b32 s29, s29, s40
	s_mov_b32 s41, -1
	s_or_b32 s27, s27, exec_lo
	s_and_saveexec_b32 s40, s29
	s_cbranch_execz .LBB10_315
.LBB10_319:                             ;   in Loop: Header=BB10_316 Depth=2
	s_sleep 1
	s_trap 2
	ds_read_b64 v[10:11], v0
	s_waitcnt lgkmcnt(0)
	buffer_gl0_inv
	s_andn2_b32 s27, s27, exec_lo
	v_cmp_ge_u64_e32 vcc_lo, v[10:11], v[36:37]
	s_orn2_b32 s41, vcc_lo, exec_lo
	s_branch .LBB10_315
.LBB10_320:                             ;   in Loop: Header=BB10_70 Depth=1
	s_inst_prefetch 0x2
	s_or_b32 exec_lo, exec_lo, s25
	s_and_saveexec_b32 s25, s26
	s_xor_b32 s25, exec_lo, s25
	s_cbranch_execz .LBB10_322
; %bb.321:                              ;   in Loop: Header=BB10_70 Depth=1
	ds_write_b32 v0, v102
	s_trap 2
.LBB10_322:                             ;   in Loop: Header=BB10_70 Depth=1
	s_or_b32 exec_lo, exec_lo, s24
	;;#ASMSTART
	s_wakeup
	;;#ASMEND
.LBB10_323:                             ;   in Loop: Header=BB10_70 Depth=1
	s_or_b32 exec_lo, exec_lo, s23
.LBB10_324:                             ;   in Loop: Header=BB10_70 Depth=1
	s_andn2_saveexec_b32 s22, s22
	s_cbranch_execz .LBB10_326
; %bb.325:                              ;   in Loop: Header=BB10_70 Depth=1
	s_waitcnt vmcnt(0) lgkmcnt(0)
	s_waitcnt_vscnt null, 0x0
	buffer_gl1_inv
	buffer_gl0_inv
	s_barrier
.LBB10_326:                             ;   in Loop: Header=BB10_70 Depth=1
	s_or_b32 exec_lo, exec_lo, s22
.LBB10_327:                             ;   in Loop: Header=BB10_70 Depth=1
	s_or_b32 exec_lo, exec_lo, s12
	v_sub_nc_u32_e32 v80, v12, v84
	v_and_b32_e32 v71, 7, v26
	v_add_nc_u32_e32 v11, 1, v26
	v_mov_b32_e32 v66, v0
	s_mov_b32 s22, exec_lo
	v_cmpx_lt_i32_e32 0, v80
	s_cbranch_execz .LBB10_335
; %bb.328:                              ;   in Loop: Header=BB10_70 Depth=1
	v_mul_lo_u32 v12, v71, s19
	v_mov_b32_e32 v68, v55
	v_mov_b32_e32 v81, v96
	;; [unrolled: 1-line block ×4, first 2 shown]
	s_mov_b32 s23, 0
	v_ashrrev_i32_e32 v13, 31, v12
	v_lshlrev_b64 v[12:13], 4, v[12:13]
	v_add_co_u32 v69, vcc_lo, v100, v12
	v_add_co_ci_u32_e64 v70, null, v101, v13, vcc_lo
	s_inst_prefetch 0x1
	s_branch .LBB10_330
	.p2align	6
.LBB10_329:                             ;   in Loop: Header=BB10_330 Depth=2
	s_or_b32 exec_lo, exec_lo, s12
	s_waitcnt vmcnt(0)
	v_alignbit_b32 v10, v113, v10, v81
	v_alignbit_b32 v12, v112, v113, v81
	v_mov_b32_e32 v13, v11
	v_sub_nc_u32_e32 v80, v80, v85
	v_add_co_u32 v67, vcc_lo, v67, v85
	v_add_co_ci_u32_e64 v68, null, 0, v68, vcc_lo
	global_store_dwordx4 v[69:70], v[10:13], off
	v_cmp_gt_i32_e32 vcc_lo, 1, v80
	v_add_co_u32 v69, s12, v69, v52
	v_add_nc_u32_e32 v66, v66, v2
	v_add_nc_u32_e32 v81, v81, v98
	v_add_co_ci_u32_e64 v70, null, v70, v53, s12
	s_or_b32 s23, vcc_lo, s23
	s_andn2_b32 exec_lo, exec_lo, s23
	s_cbranch_execz .LBB10_334
.LBB10_330:                             ;   Parent Loop BB10_70 Depth=1
                                        ; =>  This Inner Loop Header: Depth=2
	v_and_b32_e32 v12, -4, v67
	v_mov_b32_e32 v13, v68
	v_min_u32_e32 v38, 8, v80
	v_and_b32_e32 v112, 3, v67
	v_mov_b32_e32 v113, 0
	s_mov_b32 s12, exec_lo
	global_load_dword v10, v[12:13], off slc
	v_add_nc_u32_e32 v38, v112, v38
	v_mov_b32_e32 v112, 0
	v_cmpx_lt_u32_e32 4, v38
	s_cbranch_execz .LBB10_332
; %bb.331:                              ;   in Loop: Header=BB10_330 Depth=2
	global_load_dword v113, v[12:13], off offset:4 slc
.LBB10_332:                             ;   in Loop: Header=BB10_330 Depth=2
	s_or_b32 exec_lo, exec_lo, s12
	s_mov_b32 s12, exec_lo
	v_cmpx_lt_u64_e32 8, v[38:39]
	s_cbranch_execz .LBB10_329
; %bb.333:                              ;   in Loop: Header=BB10_330 Depth=2
	global_load_dword v112, v[12:13], off offset:8 slc
	s_branch .LBB10_329
.LBB10_334:                             ;   in Loop: Header=BB10_70 Depth=1
	s_inst_prefetch 0x2
	s_or_b32 exec_lo, exec_lo, s23
.LBB10_335:                             ;   in Loop: Header=BB10_70 Depth=1
	s_or_b32 exec_lo, exec_lo, s22
	v_and_b32_e32 v38, 0x7ffffff8, v26
	v_cmp_gt_i32_e64 s12, s19, v66
	v_cmp_eq_u64_e32 vcc_lo, 0x7ffffff8, v[38:39]
	s_and_b32 s12, vcc_lo, s12
	s_and_saveexec_b32 s22, s12
	s_cbranch_execz .LBB10_67
; %bb.336:                              ;   in Loop: Header=BB10_70 Depth=1
	v_mul_lo_u32 v12, v71, s19
	v_ashrrev_i32_e32 v67, 31, v66
	v_mov_b32_e32 v10, v39
	s_mov_b32 s23, 0
	v_lshlrev_b64 v[67:68], 4, v[66:67]
	v_ashrrev_i32_e32 v13, 31, v12
	v_lshlrev_b64 v[12:13], 4, v[12:13]
	v_add_co_u32 v12, vcc_lo, v67, v12
	v_add_co_ci_u32_e64 v13, null, v68, v13, vcc_lo
	v_add_co_u32 v67, vcc_lo, v24, v12
	v_add_co_ci_u32_e64 v68, null, v25, v13, vcc_lo
.LBB10_337:                             ;   Parent Loop BB10_70 Depth=1
                                        ; =>  This Inner Loop Header: Depth=2
	v_mov_b32_e32 v12, v10
	v_add_nc_u32_e32 v66, v66, v2
	v_mov_b32_e32 v13, v11
	v_cmp_le_i32_e32 vcc_lo, s19, v66
	global_store_dwordx4 v[67:68], v[10:13], off
	v_add_co_u32 v67, s12, v67, v52
	v_add_co_ci_u32_e64 v68, null, v68, v53, s12
	s_or_b32 s23, vcc_lo, s23
	s_andn2_b32 exec_lo, exec_lo, s23
	s_cbranch_execnz .LBB10_337
	s_branch .LBB10_67
.LBB10_338:
	s_or_b32 exec_lo, exec_lo, s13
	s_or_b32 exec_lo, exec_lo, s17
	s_and_saveexec_b32 s5, s16
	s_cbranch_execz .LBB10_52
.LBB10_339:
	s_waitcnt vmcnt(0) lgkmcnt(0)
	flat_store_dwordx2 v[18:19], v[28:29] offset:104
	s_or_b32 exec_lo, exec_lo, s5
	s_and_saveexec_b32 s5, s4
	s_cbranch_execnz .LBB10_53
	s_branch .LBB10_54
.LBB10_340:
	s_inst_prefetch 0x2
	s_or_b32 exec_lo, exec_lo, s8
	s_and_saveexec_b32 s8, s9
	s_xor_b32 s8, exec_lo, s8
	s_cbranch_execz .LBB10_342
; %bb.341:
	v_mov_b32_e32 v0, 1
	ds_write_b32 v0, v0
	s_trap 2
.LBB10_342:
	s_or_b32 exec_lo, exec_lo, s7
	;;#ASMSTART
	s_wakeup
	;;#ASMEND
.LBB10_343:
	s_or_b32 exec_lo, exec_lo, s6
.LBB10_344:
	s_andn2_saveexec_b32 s5, s5
	s_cbranch_execz .LBB10_346
; %bb.345:
	s_waitcnt lgkmcnt(0)
	s_waitcnt_vscnt null, 0x0
	buffer_gl1_inv
	buffer_gl0_inv
	s_barrier
.LBB10_346:
	s_or_b32 exec_lo, exec_lo, s4
	s_or_b32 exec_lo, exec_lo, s15
	s_waitcnt vmcnt(0) lgkmcnt(0)
	s_setpc_b64 s[30:31]
.Lfunc_end10:
	.size	_ZN12_GLOBAL__N_17runRingIa7FuncSumIaE7ProtoLLLi0ELi4ELi0EEEviiP15ncclDevWorkColl, .Lfunc_end10-_ZN12_GLOBAL__N_17runRingIa7FuncSumIaE7ProtoLLLi0ELi4ELi0EEEviiP15ncclDevWorkColl
                                        ; -- End function
	.set .L_ZN12_GLOBAL__N_17runRingIa7FuncSumIaE7ProtoLLLi0ELi4ELi0EEEviiP15ncclDevWorkColl.num_vgpr, 120
	.set .L_ZN12_GLOBAL__N_17runRingIa7FuncSumIaE7ProtoLLLi0ELi4ELi0EEEviiP15ncclDevWorkColl.num_agpr, 0
	.set .L_ZN12_GLOBAL__N_17runRingIa7FuncSumIaE7ProtoLLLi0ELi4ELi0EEEviiP15ncclDevWorkColl.numbered_sgpr, 44
	.set .L_ZN12_GLOBAL__N_17runRingIa7FuncSumIaE7ProtoLLLi0ELi4ELi0EEEviiP15ncclDevWorkColl.num_named_barrier, 0
	.set .L_ZN12_GLOBAL__N_17runRingIa7FuncSumIaE7ProtoLLLi0ELi4ELi0EEEviiP15ncclDevWorkColl.private_seg_size, 0
	.set .L_ZN12_GLOBAL__N_17runRingIa7FuncSumIaE7ProtoLLLi0ELi4ELi0EEEviiP15ncclDevWorkColl.uses_vcc, 1
	.set .L_ZN12_GLOBAL__N_17runRingIa7FuncSumIaE7ProtoLLLi0ELi4ELi0EEEviiP15ncclDevWorkColl.uses_flat_scratch, 1
	.set .L_ZN12_GLOBAL__N_17runRingIa7FuncSumIaE7ProtoLLLi0ELi4ELi0EEEviiP15ncclDevWorkColl.has_dyn_sized_stack, 0
	.set .L_ZN12_GLOBAL__N_17runRingIa7FuncSumIaE7ProtoLLLi0ELi4ELi0EEEviiP15ncclDevWorkColl.has_recursion, 0
	.set .L_ZN12_GLOBAL__N_17runRingIa7FuncSumIaE7ProtoLLLi0ELi4ELi0EEEviiP15ncclDevWorkColl.has_indirect_call, 0
	.section	.AMDGPU.csdata,"",@progbits
; Function info:
; codeLenInByte = 12292
; TotalNumSgprs: 46
; NumVgprs: 120
; ScratchSize: 0
; MemoryBound: 1
	.text
	.p2align	2                               ; -- Begin function _Z42ncclDevFunc_Broadcast_RING_LL_Sum_i8_0_0_4v
	.type	_Z42ncclDevFunc_Broadcast_RING_LL_Sum_i8_0_0_4v,@function
_Z42ncclDevFunc_Broadcast_RING_LL_Sum_i8_0_0_4v: ; @_Z42ncclDevFunc_Broadcast_RING_LL_Sum_i8_0_0_4v
; %bb.0:
	s_waitcnt vmcnt(0) expcnt(0) lgkmcnt(0)
	s_mov_b32 s57, s33
	s_mov_b32 s33, s32
	s_or_saveexec_b32 s4, -1
	buffer_store_dword v43, off, s[0:3], s33 offset:12 ; 4-byte Folded Spill
	s_mov_b32 exec_lo, s4
	s_addk_i32 s32, 0x400
	buffer_store_dword v40, off, s[0:3], s33 offset:8 ; 4-byte Folded Spill
	buffer_store_dword v41, off, s[0:3], s33 offset:4 ; 4-byte Folded Spill
	buffer_store_dword v42, off, s[0:3], s33 ; 4-byte Folded Spill
	v_writelane_b32 v43, s30, 0
	v_writelane_b32 v43, s31, 1
	s_trap 2
	ds_read_b32 v0, v0
	v_mov_b32_e32 v40, v31
	s_waitcnt lgkmcnt(0)
	v_cmp_gt_i32_e32 vcc_lo, 1, v0
	s_cbranch_vccnz .LBB11_8
; %bb.1:
	v_and_b32_e32 v41, 0x3ff, v40
	v_mov_b32_e32 v42, 5
	s_mov_b32 s46, s12
	s_mov_b64 s[44:45], s[8:9]
	s_mov_b32 s47, 0
	s_inst_prefetch 0x1
	s_branch .LBB11_3
	.p2align	6
.LBB11_2:                               ;   in Loop: Header=BB11_3 Depth=1
	s_or_b32 exec_lo, exec_lo, s56
	s_trap 2
	ds_read_b32 v0, v0
	s_add_i32 s47, s47, 1
	s_waitcnt lgkmcnt(0)
	v_cmp_lt_i32_e32 vcc_lo, s47, v0
	s_cbranch_vccz .LBB11_8
.LBB11_3:                               ; =>This Inner Loop Header: Depth=1
	s_trap 2
	ds_read_b32 v0, v0
	s_cmp_eq_u32 s47, 0
	s_cbranch_scc1 .LBB11_6
; %bb.4:                                ;   in Loop: Header=BB11_3 Depth=1
	s_trap 2
	s_waitcnt lgkmcnt(0)
	ds_read_b32 v1, v0
	s_waitcnt lgkmcnt(0)
	v_xor_b32_e32 v1, v1, v0
	v_and_b32_e32 v1, 0xff0000, v1
	v_cmp_eq_u32_e32 vcc_lo, 0, v1
	s_cbranch_vccnz .LBB11_6
; %bb.5:                                ;   in Loop: Header=BB11_3 Depth=1
	s_waitcnt_vscnt null, 0x0
	s_barrier
	buffer_gl0_inv
	ds_read_b32 v0, v0
.LBB11_6:                               ;   in Loop: Header=BB11_3 Depth=1
	s_waitcnt lgkmcnt(0)
	v_lshlrev_b32_sdwa v1, v42, v0 dst_sel:DWORD dst_unused:UNUSED_PAD src0_sel:DWORD src1_sel:BYTE_2
	s_mov_b32 s56, exec_lo
	v_cmpx_lt_u32_e64 v41, v1
	s_cbranch_execz .LBB11_2
; %bb.7:                                ;   in Loop: Header=BB11_3 Depth=1
	s_mov_b64 s[4:5], src_shared_base
	v_mov_b32_e32 v31, v40
	v_mov_b32_e32 v0, v41
	;; [unrolled: 1-line block ×3, first 2 shown]
	s_getpc_b64 s[6:7]
	s_add_u32 s6, s6, _ZN12_GLOBAL__N_17runRingIa7FuncSumIaE7ProtoLLLi0ELi4ELi0EEEviiP15ncclDevWorkColl@rel32@lo+4
	s_addc_u32 s7, s7, _ZN12_GLOBAL__N_17runRingIa7FuncSumIaE7ProtoLLLi0ELi4ELi0EEEviiP15ncclDevWorkColl@rel32@hi+12
	s_mov_b64 s[8:9], s[44:45]
	s_mov_b32 s12, s46
	s_swappc_b64 s[30:31], s[6:7]
	s_branch .LBB11_2
.LBB11_8:
	s_inst_prefetch 0x2
	s_clause 0x2
	buffer_load_dword v42, off, s[0:3], s33
	buffer_load_dword v41, off, s[0:3], s33 offset:4
	buffer_load_dword v40, off, s[0:3], s33 offset:8
	v_readlane_b32 s30, v43, 0
	v_readlane_b32 s31, v43, 1
	s_mov_b32 s32, s33
	s_or_saveexec_b32 s4, -1
	buffer_load_dword v43, off, s[0:3], s33 offset:12 ; 4-byte Folded Reload
	s_mov_b32 exec_lo, s4
	s_mov_b32 s33, s57
	s_waitcnt vmcnt(0)
	s_setpc_b64 s[30:31]
.Lfunc_end11:
	.size	_Z42ncclDevFunc_Broadcast_RING_LL_Sum_i8_0_0_4v, .Lfunc_end11-_Z42ncclDevFunc_Broadcast_RING_LL_Sum_i8_0_0_4v
                                        ; -- End function
	.set .L_Z42ncclDevFunc_Broadcast_RING_LL_Sum_i8_0_0_4v.num_vgpr, max(44, .L_ZN12_GLOBAL__N_17runRingIa7FuncSumIaE7ProtoLLLi0ELi4ELi0EEEviiP15ncclDevWorkColl.num_vgpr)
	.set .L_Z42ncclDevFunc_Broadcast_RING_LL_Sum_i8_0_0_4v.num_agpr, max(0, .L_ZN12_GLOBAL__N_17runRingIa7FuncSumIaE7ProtoLLLi0ELi4ELi0EEEviiP15ncclDevWorkColl.num_agpr)
	.set .L_Z42ncclDevFunc_Broadcast_RING_LL_Sum_i8_0_0_4v.numbered_sgpr, max(58, .L_ZN12_GLOBAL__N_17runRingIa7FuncSumIaE7ProtoLLLi0ELi4ELi0EEEviiP15ncclDevWorkColl.numbered_sgpr)
	.set .L_Z42ncclDevFunc_Broadcast_RING_LL_Sum_i8_0_0_4v.num_named_barrier, max(0, .L_ZN12_GLOBAL__N_17runRingIa7FuncSumIaE7ProtoLLLi0ELi4ELi0EEEviiP15ncclDevWorkColl.num_named_barrier)
	.set .L_Z42ncclDevFunc_Broadcast_RING_LL_Sum_i8_0_0_4v.private_seg_size, 32+max(.L_ZN12_GLOBAL__N_17runRingIa7FuncSumIaE7ProtoLLLi0ELi4ELi0EEEviiP15ncclDevWorkColl.private_seg_size)
	.set .L_Z42ncclDevFunc_Broadcast_RING_LL_Sum_i8_0_0_4v.uses_vcc, or(1, .L_ZN12_GLOBAL__N_17runRingIa7FuncSumIaE7ProtoLLLi0ELi4ELi0EEEviiP15ncclDevWorkColl.uses_vcc)
	.set .L_Z42ncclDevFunc_Broadcast_RING_LL_Sum_i8_0_0_4v.uses_flat_scratch, or(0, .L_ZN12_GLOBAL__N_17runRingIa7FuncSumIaE7ProtoLLLi0ELi4ELi0EEEviiP15ncclDevWorkColl.uses_flat_scratch)
	.set .L_Z42ncclDevFunc_Broadcast_RING_LL_Sum_i8_0_0_4v.has_dyn_sized_stack, or(0, .L_ZN12_GLOBAL__N_17runRingIa7FuncSumIaE7ProtoLLLi0ELi4ELi0EEEviiP15ncclDevWorkColl.has_dyn_sized_stack)
	.set .L_Z42ncclDevFunc_Broadcast_RING_LL_Sum_i8_0_0_4v.has_recursion, or(1, .L_ZN12_GLOBAL__N_17runRingIa7FuncSumIaE7ProtoLLLi0ELi4ELi0EEEviiP15ncclDevWorkColl.has_recursion)
	.set .L_Z42ncclDevFunc_Broadcast_RING_LL_Sum_i8_0_0_4v.has_indirect_call, or(0, .L_ZN12_GLOBAL__N_17runRingIa7FuncSumIaE7ProtoLLLi0ELi4ELi0EEEviiP15ncclDevWorkColl.has_indirect_call)
	.section	.AMDGPU.csdata,"",@progbits
; Function info:
; codeLenInByte = 468
; TotalNumSgprs: 60
; NumVgprs: 120
; ScratchSize: 32
; MemoryBound: 0
	.text
	.p2align	2                               ; -- Begin function _ZN12_GLOBAL__N_17runRingIa7FuncSumIaE11ProtoSimpleILi1ELi1ELi0ELi4ELi0ELi0EELi0ELi4ELi0EEEviiP15ncclDevWorkColl
	.type	_ZN12_GLOBAL__N_17runRingIa7FuncSumIaE11ProtoSimpleILi1ELi1ELi0ELi4ELi0ELi0EELi0ELi4ELi0EEEviiP15ncclDevWorkColl,@function
_ZN12_GLOBAL__N_17runRingIa7FuncSumIaE11ProtoSimpleILi1ELi1ELi0ELi4ELi0ELi0EELi0ELi4ELi0EEEviiP15ncclDevWorkColl: ; @_ZN12_GLOBAL__N_17runRingIa7FuncSumIaE11ProtoSimpleILi1ELi1ELi0ELi4ELi0ELi0EELi0ELi4ELi0EEEviiP15ncclDevWorkColl
; %bb.0:
	s_waitcnt vmcnt(0) expcnt(0) lgkmcnt(0)
	s_mov_b32 s72, s33
	s_mov_b32 s33, s32
	s_or_saveexec_b32 s4, -1
	buffer_store_dword v92, off, s[0:3], s33 offset:112 ; 4-byte Folded Spill
	s_mov_b32 exec_lo, s4
	s_addk_i32 s32, 0x1000
	buffer_store_dword v40, off, s[0:3], s33 offset:108 ; 4-byte Folded Spill
	buffer_store_dword v41, off, s[0:3], s33 offset:104 ; 4-byte Folded Spill
	;; [unrolled: 1-line block ×27, first 2 shown]
	buffer_store_dword v91, off, s[0:3], s33 ; 4-byte Folded Spill
	v_writelane_b32 v92, s30, 0
	v_writelane_b32 v92, s31, 1
	s_trap 2
	ds_read_b64 v[4:5], v0
	s_clause 0x1
	flat_load_dwordx2 v[16:17], v[2:3]
	flat_load_ushort v9, v[2:3] offset:8
	ds_read_b32 v6, v0
                                        ; implicit-def: $vgpr34_vgpr35
                                        ; implicit-def: $vgpr14_vgpr15
	s_waitcnt lgkmcnt(3)
	flat_load_dwordx2 v[32:33], v[4:5]
                                        ; implicit-def: $vgpr4_vgpr5
	s_waitcnt vmcnt(2) lgkmcnt(3)
	v_mov_b32_e32 v8, v17
	s_waitcnt lgkmcnt(1)
	v_cmp_ne_u32_sdwa s4, v6, v16 src0_sel:DWORD src1_sel:BYTE_0
	s_and_saveexec_b32 s5, s4
	s_xor_b32 s4, exec_lo, s5
	s_cbranch_execz .LBB12_6
; %bb.1:
	v_not_b32_sdwa v10, v16 dst_sel:DWORD dst_unused:UNUSED_PAD src0_sel:BYTE_0
	v_cmp_ne_u32_sdwa s5, v6, v16 src0_sel:DWORD src1_sel:BYTE_1
                                        ; implicit-def: $vgpr34_vgpr35
                                        ; implicit-def: $vgpr4_vgpr5
                                        ; implicit-def: $vgpr14_vgpr15
	s_and_saveexec_b32 s6, s5
	s_xor_b32 s5, exec_lo, s6
	s_cbranch_execz .LBB12_3
; %bb.2:
	s_clause 0x1
	flat_load_dwordx4 v[17:20], v[2:3] offset:72
	flat_load_dwordx2 v[4:5], v[2:3] offset:96
	v_add_nc_u32_e32 v6, v6, v10
                                        ; implicit-def: $vgpr10
	v_ashrrev_i32_e32 v7, 31, v6
	s_waitcnt vmcnt(1) lgkmcnt(1)
	v_mul_lo_u32 v7, v19, v7
	v_mad_u64_u32 v[14:15], null, v19, v6, v[17:18]
	v_mul_lo_u32 v6, v20, v6
	s_waitcnt vmcnt(0) lgkmcnt(0)
	v_lshrrev_b64 v[34:35], 21, v[4:5]
	v_mov_b32_e32 v4, v19
	v_mov_b32_e32 v5, v20
	v_add3_u32 v15, v6, v15, v7
.LBB12_3:
	s_andn2_saveexec_b32 s5, s5
	s_cbranch_execz .LBB12_5
; %bb.4:
	s_clause 0x1
	flat_load_dwordx4 v[17:20], v[2:3] offset:72
	flat_load_dwordx4 v[4:7], v[2:3] offset:88
	s_waitcnt vmcnt(0) lgkmcnt(0)
	v_add_nc_u32_sdwa v6, v16, v10 dst_sel:DWORD dst_unused:UNUSED_PAD src0_sel:BYTE_1 src1_sel:DWORD
	v_ashrrev_i32_e32 v10, 31, v6
	v_mul_lo_u32 v10, v19, v10
	v_mad_u64_u32 v[14:15], null, v19, v6, v[17:18]
	v_mul_lo_u32 v6, v20, v6
	v_lshrrev_b32_e32 v34, 10, v7
	v_add3_u32 v15, v6, v15, v10
.LBB12_5:
	s_or_b32 exec_lo, exec_lo, s5
.LBB12_6:
	s_andn2_saveexec_b32 s4, s4
	s_cbranch_execz .LBB12_8
; %bb.7:
	s_clause 0x1
	flat_load_dwordx2 v[4:5], v[2:3] offset:72
	flat_load_dwordx2 v[34:35], v[2:3] offset:96
	v_mov_b32_e32 v14, 0
	v_mov_b32_e32 v15, 0
.LBB12_8:
	s_or_b32 exec_lo, exec_lo, s4
	flat_load_dwordx4 v[10:13], v[2:3] offset:16
	v_and_b32_e32 v6, 0x44000000, v16
	v_bfe_u32 v38, v8, 1, 30
	s_mov_b32 s4, exec_lo
	v_cmp_eq_u32_e64 s13, 0x44000000, v6
	v_cndmask_b32_e64 v30, v1, 32, s13
	v_cmpx_ge_i32_e64 v0, v30
	s_xor_b32 s5, exec_lo, s4
	s_cbranch_execz .LBB12_38
; %bb.9:
	s_waitcnt vmcnt(0) lgkmcnt(0)
	v_cmp_ne_u64_e32 vcc_lo, v[12:13], v[10:11]
	v_cmp_eq_u32_e64 s4, v32, v38
	s_and_b32 s4, vcc_lo, s4
	s_and_saveexec_b32 s6, s4
	s_cbranch_execz .LBB12_37
; %bb.10:
	v_sub_nc_u32_e32 v16, v0, v30
	v_add_co_u32 v6, vcc_lo, v12, v14
	v_add_co_ci_u32_e64 v7, null, v13, v15, vcc_lo
	v_ashrrev_i16 v0, 15, v16
	v_add_co_u32 v8, vcc_lo, v10, v14
	v_add_co_ci_u32_e64 v9, null, v11, v15, vcc_lo
	v_lshrrev_b16 v0, 11, v0
	s_mov_b32 s4, 0
	s_mov_b32 s7, exec_lo
	v_add_nc_u16 v0, v16, v0
	v_and_b32_e32 v2, 0xffffffe0, v0
	v_sub_nc_u16 v19, v16, v2
	v_cmpx_gt_i16_e32 1, v19
; %bb.11:
	v_or_b32_e32 v2, v6, v8
	v_and_b32_e32 v2, 15, v2
	v_cmp_ne_u32_e32 vcc_lo, 0, v2
	s_and_b32 s4, vcc_lo, exec_lo
; %bb.12:
	s_or_b32 exec_lo, exec_lo, s7
	v_cndmask_b32_e64 v2, 0, 1, s4
	v_sub_nc_u32_e32 v18, v1, v30
	v_cmp_ne_u32_e32 vcc_lo, 0, v2
	s_cbranch_vccz .LBB12_14
; %bb.13:
	v_mov_b32_e32 v0, 0
	v_mov_b32_e32 v1, 0
	s_mov_b32 s4, -1
	s_and_b32 exec_lo, exec_lo, s4
	s_cbranch_execnz .LBB12_29
	s_branch .LBB12_37
.LBB12_14:
	v_ashrrev_i32_e32 v1, 31, v5
	v_ashrrev_i16 v2, 5, v0
	s_mov_b32 s10, 0
	s_mov_b32 s7, exec_lo
	v_lshrrev_b32_e32 v1, 20, v1
	v_bfe_i32 v16, v2, 0, 16
	v_add_co_u32 v0, vcc_lo, v4, v1
	v_add_co_ci_u32_e64 v1, null, 0, v5, vcc_lo
	v_ashrrev_i32_e32 v3, 31, v16
	v_ashrrev_i64 v[0:1], 12, v[0:1]
	v_sub_co_u32 v2, vcc_lo, v0, v16
	v_sub_co_ci_u32_e64 v3, null, v1, v3, vcc_lo
	v_cmpx_lt_i64_e32 0, v[2:3]
	s_cbranch_execz .LBB12_18
; %bb.15:
	v_ashrrev_i16 v17, 15, v18
	v_mov_b32_e32 v20, 4
	v_mov_b32_e32 v22, 12
	v_lshrrev_b16 v17, 11, v17
	v_lshlrev_b32_sdwa v20, v20, sext(v19) dst_sel:DWORD dst_unused:UNUSED_PAD src0_sel:DWORD src1_sel:WORD_0
	v_add_nc_u16 v17, v18, v17
	v_lshl_add_u32 v16, v16, 12, v20
	v_ashrrev_i16 v21, 5, v17
	v_bfe_i32 v17, v21, 0, 16
	v_lshlrev_b32_sdwa v20, v22, sext(v21) dst_sel:DWORD dst_unused:UNUSED_PAD src0_sel:DWORD src1_sel:WORD_0
	v_ashrrev_i32_e32 v21, 31, v16
	v_ashrrev_i32_e32 v22, 31, v17
	;; [unrolled: 1-line block ×3, first 2 shown]
.LBB12_16:                              ; =>This Inner Loop Header: Depth=1
	v_add_co_u32 v36, vcc_lo, v16, v6
	v_add_co_ci_u32_e64 v37, null, v21, v7, vcc_lo
	v_add_co_u32 v68, vcc_lo, 0x800, v36
	v_add_co_ci_u32_e64 v69, null, 0, v37, vcc_lo
	s_clause 0x3
	global_load_dwordx4 v[24:27], v[36:37], off slc
	global_load_dwordx4 v[28:31], v[36:37], off offset:512 slc
	global_load_dwordx4 v[32:35], v[36:37], off offset:1024 slc
	;; [unrolled: 1-line block ×3, first 2 shown]
	s_clause 0x3
	global_load_dwordx4 v[48:51], v[68:69], off slc
	global_load_dwordx4 v[52:55], v[68:69], off offset:512 slc
	global_load_dwordx4 v[64:67], v[68:69], off offset:1024 slc
	;; [unrolled: 1-line block ×3, first 2 shown]
	v_add_co_u32 v80, vcc_lo, v16, v8
	v_add_co_ci_u32_e64 v81, null, v21, v9, vcc_lo
	v_sub_co_u32 v2, vcc_lo, v2, v17
	v_sub_co_ci_u32_e64 v3, null, v3, v22, vcc_lo
	v_add_co_u32 v6, vcc_lo, v6, v20
	v_add_co_ci_u32_e64 v7, null, v7, v23, vcc_lo
	v_add_co_u32 v8, vcc_lo, v8, v20
	v_add_co_ci_u32_e64 v9, null, v9, v23, vcc_lo
	v_cmp_gt_i64_e32 vcc_lo, 1, v[2:3]
	v_add_co_u32 v82, s4, 0x800, v80
	v_add_co_ci_u32_e64 v83, null, 0, v81, s4
	s_waitcnt vmcnt(7)
	global_store_dwordx4 v[80:81], v[24:27], off glc slc
	s_waitcnt vmcnt(6)
	global_store_dwordx4 v[80:81], v[28:31], off offset:512 glc slc
	s_waitcnt vmcnt(5)
	global_store_dwordx4 v[80:81], v[32:35], off offset:1024 glc slc
	;; [unrolled: 2-line block ×3, first 2 shown]
	s_waitcnt vmcnt(3)
	global_store_dwordx4 v[82:83], v[48:51], off glc slc
	s_waitcnt vmcnt(2)
	global_store_dwordx4 v[82:83], v[52:55], off offset:512 glc slc
	s_waitcnt vmcnt(1)
	global_store_dwordx4 v[82:83], v[64:67], off offset:1024 glc slc
	;; [unrolled: 2-line block ×3, first 2 shown]
	s_or_b32 s10, vcc_lo, s10
	s_andn2_b32 exec_lo, exec_lo, s10
	s_cbranch_execnz .LBB12_16
; %bb.17:
	s_or_b32 exec_lo, exec_lo, s10
.LBB12_18:
	s_or_b32 exec_lo, exec_lo, s7
	v_lshlrev_b64 v[8:9], 12, v[0:1]
	v_mov_b32_e32 v0, 0
	v_mov_b32_e32 v1, 0
	s_mov_b32 s4, 0
	s_mov_b32 s7, exec_lo
                                        ; implicit-def: $vgpr6_vgpr7
                                        ; implicit-def: $vgpr16
	v_cmpx_ne_u64_e64 v[4:5], v[8:9]
	s_cbranch_execz .LBB12_28
; %bb.19:
	v_sub_co_u32 v3, vcc_lo, v4, v8
	v_sub_co_ci_u32_e64 v20, null, v5, v9, vcc_lo
	v_mov_b32_e32 v5, 0
	v_ashrrev_i32_e32 v0, 31, v20
	v_lshrrev_b32_e32 v0, 23, v0
	v_add_co_u32 v0, vcc_lo, v3, v0
	v_add_co_ci_u32_e64 v1, null, 0, v20, vcc_lo
	v_and_b32_e32 v21, 0xfffffe00, v0
	v_ashrrev_i64 v[16:17], 9, v[0:1]
	v_sub_co_u32 v6, vcc_lo, v3, v21
	v_add_co_u32 v0, s4, v21, v8
	v_sub_co_ci_u32_e64 v7, null, v20, v1, vcc_lo
	v_add_co_ci_u32_e64 v1, null, v1, v9, s4
	s_mov_b32 s4, exec_lo
	v_cmpx_lt_i64_e32 15, v[6:7]
	s_cbranch_execz .LBB12_21
; %bb.20:
	v_and_b32_e32 v4, 15, v4
	v_sub_co_u32 v6, vcc_lo, v6, v4
	v_subrev_co_ci_u32_e64 v7, null, 0, v7, vcc_lo
	v_add_co_u32 v16, vcc_lo, v16, 1
	v_add_co_ci_u32_e64 v17, null, 0, v17, vcc_lo
	v_add_co_u32 v0, vcc_lo, v6, v0
	v_add_co_ci_u32_e64 v1, null, v7, v1, vcc_lo
	v_mov_b32_e32 v7, v5
	v_mov_b32_e32 v6, v4
.LBB12_21:
	s_or_b32 exec_lo, exec_lo, s4
	v_lshlrev_b32_e32 v2, 5, v2
	s_mov_b32 s10, exec_lo
	v_sub_nc_u32_sdwa v2, sext(v19), v2 dst_sel:DWORD dst_unused:UNUSED_PAD src0_sel:WORD_0 src1_sel:DWORD
	v_ashrrev_i32_e32 v4, 31, v2
	v_lshrrev_b32_e32 v4, 27, v4
	v_add_nc_u32_e32 v4, v2, v4
	v_and_b32_e32 v5, 0xffffffe0, v4
	v_sub_nc_u32_e32 v19, v2, v5
	v_ashrrev_i32_e32 v2, 5, v4
	v_lshlrev_b32_e32 v4, 4, v19
	v_lshl_add_u32 v21, v2, 9, v4
	v_ashrrev_i32_e32 v22, 31, v21
	v_sub_co_u32 v4, vcc_lo, v3, v21
	v_ashrrev_i32_e32 v3, 31, v2
	v_sub_co_u32 v2, s4, v16, v2
	v_sub_co_ci_u32_e64 v5, null, v20, v22, vcc_lo
	v_sub_co_ci_u32_e64 v3, null, v17, v3, s4
	v_cmpx_lt_i64_e32 15, v[4:5]
	s_cbranch_execz .LBB12_25
; %bb.22:
	v_ashrrev_i16 v16, 15, v18
	v_mov_b32_e32 v20, 9
	s_mov_b32 s11, 0
	v_lshrrev_b16 v16, 11, v16
	v_add_nc_u16 v16, v18, v16
	v_ashrrev_i16 v17, 5, v16
	v_bfe_i32 v16, v17, 0, 16
	v_lshlrev_b32_sdwa v17, v20, sext(v17) dst_sel:DWORD dst_unused:UNUSED_PAD src0_sel:DWORD src1_sel:WORD_0
	v_add_co_u32 v20, vcc_lo, v14, v8
	v_add_co_ci_u32_e64 v23, null, v15, v9, vcc_lo
	v_ashrrev_i32_e32 v8, 31, v17
	v_add_co_u32 v20, vcc_lo, v20, v21
	v_ashrrev_i32_e32 v9, 31, v16
	v_add_co_ci_u32_e64 v21, null, v23, v22, vcc_lo
	.p2align	6
.LBB12_23:                              ; =>This Inner Loop Header: Depth=1
	v_add_co_u32 v22, vcc_lo, v12, v20
	v_add_co_ci_u32_e64 v23, null, v13, v21, vcc_lo
	v_add_co_u32 v26, vcc_lo, v10, v20
	v_add_co_ci_u32_e64 v27, null, v11, v21, vcc_lo
	global_load_dwordx4 v[22:25], v[22:23], off slc
	v_sub_co_u32 v4, vcc_lo, v4, v17
	v_sub_co_ci_u32_e64 v5, null, v5, v8, vcc_lo
	v_sub_co_u32 v2, vcc_lo, v2, v16
	v_sub_co_ci_u32_e64 v3, null, v3, v9, vcc_lo
	v_cmp_gt_i64_e32 vcc_lo, 16, v[4:5]
	v_add_co_u32 v20, s4, v20, v17
	v_add_co_ci_u32_e64 v21, null, v21, v8, s4
	s_or_b32 s11, vcc_lo, s11
	s_waitcnt vmcnt(0)
	global_store_dwordx4 v[26:27], v[22:25], off glc slc
	s_andn2_b32 exec_lo, exec_lo, s11
	s_cbranch_execnz .LBB12_23
; %bb.24:
	s_or_b32 exec_lo, exec_lo, s11
.LBB12_25:
	s_or_b32 exec_lo, exec_lo, s10
	s_mov_b32 s4, exec_lo
	v_cmpx_lt_i64_e32 0, v[2:3]
	s_cbranch_execz .LBB12_27
; %bb.26:
	v_ashrrev_i16 v4, 15, v18
	v_lshrrev_b16 v4, 11, v4
	v_add_nc_u16 v4, v18, v4
	v_ashrrev_i16 v4, 5, v4
	v_bfe_i32 v4, v4, 0, 16
	v_ashrrev_i32_e32 v5, 31, v4
	v_sub_co_u32 v2, vcc_lo, v2, v4
	v_sub_co_ci_u32_e64 v3, null, v3, v5, vcc_lo
.LBB12_27:
	s_or_b32 exec_lo, exec_lo, s4
	v_lshlrev_b32_e32 v2, 5, v2
	v_cmp_ne_u64_e32 vcc_lo, 0, v[6:7]
	v_sub_nc_u32_e32 v16, v19, v2
	s_and_b32 s4, vcc_lo, exec_lo
.LBB12_28:
	s_or_b32 exec_lo, exec_lo, s7
	v_mov_b32_e32 v4, v6
	v_mov_b32_e32 v5, v7
	s_and_b32 exec_lo, exec_lo, s4
	s_cbranch_execz .LBB12_37
.LBB12_29:
	v_ashrrev_i32_e32 v2, 31, v16
	v_ashrrev_i32_e32 v3, 31, v5
	s_mov_b32 s4, exec_lo
	v_lshrrev_b32_e32 v2, 27, v2
	v_lshrrev_b32_e32 v3, 22, v3
	v_add_nc_u32_e32 v9, v16, v2
	v_add_co_u32 v2, vcc_lo, v4, v3
	v_add_co_ci_u32_e64 v3, null, 0, v5, vcc_lo
	v_ashrrev_i32_e32 v8, 5, v9
	v_ashrrev_i64 v[6:7], 10, v[2:3]
	v_ashrrev_i32_e32 v3, 31, v8
	v_sub_co_u32 v2, vcc_lo, v6, v8
	v_sub_co_ci_u32_e64 v3, null, v7, v3, vcc_lo
	v_cmpx_lt_i64_e32 0, v[2:3]
	s_cbranch_execz .LBB12_33
; %bb.30:
	v_ashrrev_i16 v17, 15, v18
	v_and_b32_e32 v9, 0xffffffe0, v9
	v_mov_b32_e32 v19, 10
	v_add_co_u32 v25, vcc_lo, v14, v0
	v_lshrrev_b16 v17, 11, v17
	v_sub_nc_u32_e32 v9, v16, v9
	v_add_co_ci_u32_e64 v26, null, v15, v1, vcc_lo
	s_mov_b32 s7, 0
	v_add_nc_u16 v17, v18, v17
	v_lshl_add_u32 v9, v8, 10, v9
	v_ashrrev_i16 v20, 5, v17
	v_ashrrev_i32_e32 v22, 31, v9
	v_bfe_i32 v17, v20, 0, 16
	v_lshlrev_b32_sdwa v19, v19, sext(v20) dst_sel:DWORD dst_unused:UNUSED_PAD src0_sel:DWORD src1_sel:WORD_0
	v_add_co_u32 v20, vcc_lo, v25, v12
	v_add_co_ci_u32_e64 v21, null, v26, v13, vcc_lo
	v_add_co_u32 v25, vcc_lo, v25, v10
	v_ashrrev_i32_e32 v23, 31, v17
	v_ashrrev_i32_e32 v24, 31, v19
	v_add_co_ci_u32_e64 v26, null, v26, v11, vcc_lo
.LBB12_31:                              ; =>This Inner Loop Header: Depth=1
	v_add_co_u32 v27, vcc_lo, v9, v20
	v_add_co_ci_u32_e64 v28, null, v22, v21, vcc_lo
	s_clause 0x1f
	flat_load_ubyte v29, v[27:28] slc
	flat_load_ubyte v30, v[27:28] offset:32 slc
	flat_load_ubyte v31, v[27:28] offset:64 slc
	;; [unrolled: 1-line block ×31, first 2 shown]
	v_add_co_u32 v27, vcc_lo, v9, v25
	v_add_co_ci_u32_e64 v28, null, v22, v26, vcc_lo
	v_sub_co_u32 v2, vcc_lo, v2, v17
	v_sub_co_ci_u32_e64 v3, null, v3, v23, vcc_lo
	v_add_co_u32 v20, vcc_lo, v20, v19
	v_add_co_ci_u32_e64 v21, null, v21, v24, vcc_lo
	v_add_co_u32 v25, vcc_lo, v25, v19
	v_add_co_ci_u32_e64 v26, null, v26, v24, vcc_lo
	v_cmp_gt_i64_e32 vcc_lo, 1, v[2:3]
	s_waitcnt vmcnt(31) lgkmcnt(31)
	flat_store_byte v[27:28], v29 glc slc
	s_waitcnt vmcnt(30) lgkmcnt(31)
	flat_store_byte v[27:28], v30 offset:32 glc slc
	s_waitcnt vmcnt(29) lgkmcnt(31)
	flat_store_byte v[27:28], v31 offset:64 glc slc
	;; [unrolled: 2-line block ×31, first 2 shown]
	s_or_b32 s7, vcc_lo, s7
	s_andn2_b32 exec_lo, exec_lo, s7
	s_cbranch_execnz .LBB12_31
; %bb.32:
	s_or_b32 exec_lo, exec_lo, s7
.LBB12_33:
	s_or_b32 exec_lo, exec_lo, s4
	v_lshlrev_b64 v[6:7], 10, v[6:7]
	v_cmp_ne_u64_e32 vcc_lo, v[4:5], v[6:7]
	s_and_b32 exec_lo, exec_lo, vcc_lo
	s_cbranch_execz .LBB12_37
; %bb.34:
	v_lshlrev_b32_e32 v3, 5, v8
	v_lshlrev_b32_e32 v2, 5, v2
	v_sub_nc_u32_e32 v3, v16, v3
	v_sub_nc_u32_e32 v8, v3, v2
	v_ashrrev_i32_e32 v9, 31, v8
	v_add_co_u32 v2, vcc_lo, v6, v8
	v_add_co_ci_u32_e64 v3, null, v7, v9, vcc_lo
	v_sub_co_u32 v2, vcc_lo, v4, v2
	v_sub_co_ci_u32_e64 v3, null, v5, v3, vcc_lo
	v_cmp_lt_i64_e32 vcc_lo, 0, v[2:3]
	s_and_b32 exec_lo, exec_lo, vcc_lo
	s_cbranch_execz .LBB12_37
; %bb.35:
	v_ashrrev_i16 v4, 15, v18
	v_mov_b32_e32 v5, 5
	v_add_co_u32 v14, vcc_lo, v14, v0
	v_add_co_ci_u32_e64 v1, null, v15, v1, vcc_lo
	v_lshrrev_b16 v4, 11, v4
	s_mov_b32 s7, 0
	v_add_nc_u16 v4, v18, v4
	v_ashrrev_i16 v4, 5, v4
	v_lshlrev_b32_sdwa v0, v5, sext(v4) dst_sel:DWORD dst_unused:UNUSED_PAD src0_sel:DWORD src1_sel:WORD_0
	v_add_co_u32 v4, vcc_lo, v14, v6
	v_add_co_ci_u32_e64 v5, null, v1, v7, vcc_lo
	v_ashrrev_i32_e32 v1, 31, v0
	v_add_co_u32 v4, vcc_lo, v4, v8
	v_add_co_ci_u32_e64 v5, null, v5, v9, vcc_lo
	.p2align	6
.LBB12_36:                              ; =>This Inner Loop Header: Depth=1
	v_add_co_u32 v6, vcc_lo, v12, v4
	v_add_co_ci_u32_e64 v7, null, v13, v5, vcc_lo
	v_sub_co_u32 v2, vcc_lo, v2, v0
	v_sub_co_ci_u32_e64 v3, null, v3, v1, vcc_lo
	flat_load_ubyte v8, v[6:7] slc
	v_add_co_u32 v6, vcc_lo, v10, v4
	v_add_co_ci_u32_e64 v7, null, v11, v5, vcc_lo
	v_cmp_gt_i64_e32 vcc_lo, 1, v[2:3]
	v_add_co_u32 v4, s4, v4, v0
	v_add_co_ci_u32_e64 v5, null, v5, v1, s4
	s_or_b32 s7, vcc_lo, s7
	s_waitcnt vmcnt(0) lgkmcnt(0)
	flat_store_byte v[6:7], v8 glc slc
	s_andn2_b32 exec_lo, exec_lo, s7
	s_cbranch_execnz .LBB12_36
.LBB12_37:
	s_or_b32 exec_lo, exec_lo, s6
                                        ; implicit-def: $vgpr32_vgpr33
                                        ; implicit-def: $vgpr14_vgpr15
                                        ; implicit-def: $vgpr4_vgpr5
                                        ; implicit-def: $vgpr34_vgpr35
                                        ; implicit-def: $vgpr38
                                        ; implicit-def: $vgpr30
                                        ; implicit-def: $vgpr0
                                        ; implicit-def: $vgpr31
                                        ; implicit-def: $vgpr12_vgpr13
                                        ; implicit-def: $vgpr8_vgpr9
                                        ; implicit-def: $vgpr2_vgpr3
.LBB12_38:
	s_andn2_saveexec_b32 s25, s5
	s_cbranch_execz .LBB12_1037
; %bb.39:
	s_trap 2
	ds_read_b64 v[6:7], v0
	s_mov_b32 s5, exec_lo
	s_waitcnt lgkmcnt(0)
	v_cmp_ne_u32_e32 vcc_lo, -1, v6
	v_cndmask_b32_e64 v37, 0, 1, vcc_lo
	v_cmp_ne_u32_e32 vcc_lo, -1, v7
	v_add_co_ci_u32_e64 v1, null, 0, v37, vcc_lo
	v_lshlrev_b32_e32 v6, 1, v1
	v_cmpx_le_u32_e64 v6, v30
	s_xor_b32 s24, exec_lo, s5
	s_cbranch_execz .LBB12_1034
; %bb.40:
	flat_load_dwordx2 v[24:25], v[2:3] offset:104
	s_trap 2
	s_load_dword s4, s[8:9], 0x0
	v_mov_b32_e32 v6, 0
	v_mov_b32_e32 v52, 4
	s_waitcnt lgkmcnt(0)
	s_cmp_lt_u32 s12, s4
	s_cselect_b32 s4, 12, 18
	s_add_u32 s4, s8, s4
	s_addc_u32 s5, s9, 0
	global_load_ushort v39, v6, s[4:5]
	ds_read_b32 v6, v0
	s_mov_b32 s5, exec_lo
	s_waitcnt lgkmcnt(0)
	v_readfirstlane_b32 s12, v6
	v_cmpx_ge_i32_e64 v0, v37
	s_cbranch_execz .LBB12_50
; %bb.41:
	v_cmp_ge_u32_e64 s4, v0, v1
                                        ; implicit-def: $vgpr52
	s_and_saveexec_b32 s6, s4
	s_xor_b32 s4, exec_lo, s6
	s_cbranch_execz .LBB12_47
; %bb.42:
	v_cndmask_b32_e64 v6, 0, 1, vcc_lo
	s_mov_b32 s6, exec_lo
	v_sub_nc_u32_e32 v6, v30, v6
	v_cmpx_ge_u32_e64 v0, v6
	s_xor_b32 s6, exec_lo, s6
; %bb.43:
                                        ; implicit-def: $vgpr1
; %bb.44:
	s_or_saveexec_b32 s6, s6
	v_mov_b32_e32 v52, 16
	s_xor_b32 exec_lo, exec_lo, s6
; %bb.45:
	v_sub_nc_u32_e32 v1, v30, v1
	v_cmp_lt_i32_e32 vcc_lo, v0, v1
	v_cndmask_b32_e64 v52, 32, 0, vcc_lo
; %bb.46:
	s_or_b32 exec_lo, exec_lo, s6
.LBB12_47:
	s_andn2_saveexec_b32 s4, s4
; %bb.48:
	v_mov_b32_e32 v52, 8
; %bb.49:
	s_or_b32 exec_lo, exec_lo, s4
.LBB12_50:
	s_or_b32 exec_lo, exec_lo, s5
	v_and_b32_e32 v1, 36, v52
	s_waitcnt vmcnt(3)
	v_mov_b32_e32 v35, -1
	v_cmp_ne_u32_e32 vcc_lo, 0, v1
	s_and_saveexec_b32 s4, vcc_lo
	s_cbranch_execz .LBB12_52
; %bb.51:
	s_trap 2
	ds_read_b32 v35, v0
.LBB12_52:
	s_or_b32 exec_lo, exec_lo, s4
	v_and_b32_e32 v1, 24, v52
	s_mov_b32 s5, exec_lo
	v_cmpx_ne_u32_e32 0, v1
	s_cbranch_execz .LBB12_54
; %bb.53:
	s_trap 2
	s_waitcnt lgkmcnt(0)
	ds_read_b32 v35, v0
.LBB12_54:
	s_or_b32 exec_lo, exec_lo, s5
	v_lshrrev_b64 v[8:9], 31, v[8:9]
	v_mov_b32_e32 v18, 0
	v_mov_b32_e32 v6, 0
	;; [unrolled: 1-line block ×4, first 2 shown]
                                        ; implicit-def: $vgpr16_vgpr17
                                        ; implicit-def: $vgpr53
                                        ; implicit-def: $vgpr22_vgpr23
                                        ; implicit-def: $vgpr28_vgpr29
                                        ; implicit-def: $vgpr20_vgpr21
	v_and_b32_e32 v1, 3, v8
	s_and_saveexec_b32 s4, vcc_lo
	s_cbranch_execz .LBB12_64
; %bb.55:
	s_trap 2
	ds_read_b64 v[6:7], v0
	s_waitcnt lgkmcnt(1)
	v_ashrrev_i32_e32 v36, 31, v35
	s_mov_b32 s5, exec_lo
                                        ; implicit-def: $vgpr16_vgpr17
	v_lshlrev_b64 v[8:9], 3, v[35:36]
	s_waitcnt lgkmcnt(0)
	v_add_co_u32 v6, vcc_lo, v6, v8
	v_add_co_ci_u32_e64 v7, null, v7, v9, vcc_lo
	v_and_b32_e32 v8, 0xffff, v1
	flat_load_dwordx2 v[6:7], v[6:7]
	s_waitcnt vmcnt(0) lgkmcnt(0)
	v_mad_u64_u32 v[26:27], null, 0xa8, v8, v[6:7]
	flat_load_dword v6, v[26:27] offset:640
	s_waitcnt vmcnt(0) lgkmcnt(0)
	v_cmpx_eq_u32_e32 1, v6
	s_cbranch_execz .LBB12_57
; %bb.56:
	flat_load_dwordx2 v[16:17], v[26:27] offset:648
	v_or_b32_e32 v52, 0x2000, v52
	s_waitcnt vmcnt(0) lgkmcnt(0)
	flat_load_dwordx2 v[6:7], v[16:17]
	s_trap 2
	s_waitcnt vmcnt(0) lgkmcnt(0)
	ds_write_b64 v0, v[6:7]
	flat_load_dwordx2 v[6:7], v[16:17] offset:8
	s_waitcnt vmcnt(0) lgkmcnt(0)
	ds_write_b64 v0, v[6:7]
	flat_load_dwordx2 v[6:7], v[16:17] offset:16
	s_waitcnt vmcnt(0) lgkmcnt(0)
	ds_write_b64 v0, v[6:7]
.LBB12_57:
	s_or_b32 exec_lo, exec_lo, s5
	flat_load_dwordx2 v[8:9], v[26:27] offset:608
	v_and_b32_e32 v6, 32, v52
	s_mov_b32 s5, exec_lo
                                        ; implicit-def: $vgpr20_vgpr21
	v_cmpx_ne_u32_e32 0, v6
	s_cbranch_execz .LBB12_59
; %bb.58:
	flat_load_dwordx2 v[20:21], v[26:27] offset:560
	s_waitcnt vmcnt(0) lgkmcnt(0)
	s_waitcnt_vscnt null, 0x0
	flat_store_dwordx2 v[20:21], v[8:9]
.LBB12_59:
	s_or_b32 exec_lo, exec_lo, s5
	v_and_b32_e32 v22, 4, v52
	v_add_co_u32 v18, vcc_lo, 0x1f8, v26
	v_mov_b32_e32 v6, 0
	v_add_co_ci_u32_e64 v19, null, 0, v27, vcc_lo
	v_mov_b32_e32 v7, 0
	v_cmp_ne_u32_e32 vcc_lo, 0, v22
                                        ; implicit-def: $vgpr53
                                        ; implicit-def: $vgpr22_vgpr23
                                        ; implicit-def: $vgpr28_vgpr29
	s_and_saveexec_b32 s5, vcc_lo
	s_cbranch_execz .LBB12_63
; %bb.60:
	v_and_b32_e32 v6, 0x800, v52
	s_mov_b32 s6, exec_lo
	v_cmpx_eq_u32_e32 0, v6
	s_cbranch_execz .LBB12_62
; %bb.61:
	s_trap 2
	ds_write_b64 v0, v[18:19]
.LBB12_62:
	s_or_b32 exec_lo, exec_lo, s6
	flat_load_dwordx2 v[20:21], v[26:27] offset:552
	s_waitcnt vmcnt(0) lgkmcnt(0)
	flat_load_dwordx2 v[28:29], v[20:21] glc dlc
	s_clause 0x2
	flat_load_dwordx2 v[6:7], v[26:27] offset:600
	flat_load_dword v53, v[26:27] offset:576
	flat_load_dwordx2 v[22:23], v[26:27] offset:520
	v_or_b32_e32 v26, 0x100, v52
	s_waitcnt vmcnt(2) lgkmcnt(2)
	v_cmp_eq_u64_e32 vcc_lo, 0, v[6:7]
	v_cndmask_b32_e32 v52, v26, v52, vcc_lo
.LBB12_63:
	s_or_b32 exec_lo, exec_lo, s5
.LBB12_64:
	s_or_b32 exec_lo, exec_lo, s4
	v_and_b32_e32 v26, 24, v52
	v_cmp_ne_u32_e32 vcc_lo, 0, v26
                                        ; implicit-def: $vgpr26_vgpr27
	s_and_saveexec_b32 s4, vcc_lo
	s_cbranch_execz .LBB12_72
; %bb.65:
	s_trap 2
	ds_read_b64 v[6:7], v0
	s_waitcnt lgkmcnt(1)
	v_ashrrev_i32_e32 v36, 31, v35
	v_and_b32_e32 v1, 0xffff, v1
	s_mov_b32 s5, exec_lo
                                        ; implicit-def: $vgpr26_vgpr27
	s_waitcnt vmcnt(0)
	v_lshlrev_b64 v[8:9], 3, v[35:36]
	s_waitcnt lgkmcnt(0)
	v_add_co_u32 v6, vcc_lo, v6, v8
	v_add_co_ci_u32_e64 v7, null, v7, v9, vcc_lo
	flat_load_dwordx2 v[6:7], v[6:7]
	s_waitcnt vmcnt(0) lgkmcnt(0)
	v_mad_u64_u32 v[18:19], null, 0xa8, v1, v[6:7]
	v_or_b32_e32 v1, 0x100, v52
	flat_load_dwordx4 v[6:9], v[18:19] offset:96
	s_waitcnt vmcnt(0) lgkmcnt(0)
	v_cmp_eq_u64_e32 vcc_lo, 0, v[6:7]
	v_cndmask_b32_e32 v52, v1, v52, vcc_lo
	v_and_b32_e32 v1, 16, v52
	v_cmpx_ne_u32_e32 0, v1
	s_cbranch_execz .LBB12_67
; %bb.66:
	s_clause 0x2
	flat_load_dwordx2 v[20:21], v[18:19] offset:48
	flat_load_dwordx2 v[26:27], v[18:19] offset:120
	;; [unrolled: 1-line block ×3, first 2 shown]
.LBB12_67:
	s_or_b32 exec_lo, exec_lo, s5
	v_and_b32_e32 v1, 8, v52
	s_mov_b32 s5, exec_lo
	v_cmpx_ne_u32_e32 0, v1
	s_cbranch_execz .LBB12_71
; %bb.68:
	v_and_b32_e32 v1, 0x800, v52
	s_mov_b32 s6, exec_lo
	v_cmpx_eq_u32_e32 0, v1
	s_cbranch_execz .LBB12_70
; %bb.69:
	s_trap 2
	ds_write_b64 v0, v[18:19]
.LBB12_70:
	s_or_b32 exec_lo, exec_lo, s6
	s_waitcnt vmcnt(2) lgkmcnt(2)
	flat_load_dwordx2 v[20:21], v[18:19] offset:56
	s_waitcnt vmcnt(0) lgkmcnt(0)
	flat_load_dwordx2 v[28:29], v[20:21] glc dlc
	s_clause 0x1
	flat_load_dword v53, v[18:19] offset:72
	flat_load_dwordx2 v[22:23], v[18:19] offset:16
.LBB12_71:
	s_or_b32 exec_lo, exec_lo, s5
.LBB12_72:
	s_or_b32 exec_lo, exec_lo, s4
	v_cmp_eq_u32_e64 s4, 0, v0
	s_and_saveexec_b32 s5, s4
	s_cbranch_execz .LBB12_74
; %bb.73:
	s_waitcnt lgkmcnt(0)
	flat_load_dwordx2 v[35:36], v[2:3] offset:32
	s_waitcnt vmcnt(3)
	v_mov_b32_e32 v48, v12
	v_mov_b32_e32 v49, v13
	;; [unrolled: 1-line block ×4, first 2 shown]
	ds_write2_b64 v0, v[48:49], v[50:51] offset1:1
	s_trap 2
	s_waitcnt vmcnt(0) lgkmcnt(1)
	ds_write_b64 v0, v[35:36]
	ds_write_b64 v0, v[24:25]
.LBB12_74:
	s_or_b32 exec_lo, exec_lo, s5
	s_waitcnt vmcnt(1)
	v_mov_b32_e32 v24, 0
	v_mov_b32_e32 v25, 0
	s_mov_b32 s26, exec_lo
	s_trap 2
	v_cmpx_ne_u64_e32 0, v[4:5]
	s_cbranch_execz .LBB12_1000
; %bb.75:
	flat_load_dword v36, v[2:3] offset:4
	v_cvt_f64_u32_e32 v[2:3], 0
	v_lshlrev_b32_e32 v24, 9, v34
	v_cmp_ne_u64_e64 s17, v[12:13], v[10:11]
	s_waitcnt lgkmcnt(1)
	v_ashrrev_i32_e32 v35, 31, v0
	v_and_b32_e32 v34, 31, v31
	s_ashr_i32 s14, s12, 31
	v_and_b32_e32 v65, 0x3ffffe00, v24
	v_lshrrev_b32_e32 v55, 5, v30
	v_lshrrev_b32_e32 v12, 27, v35
	s_xor_b32 s18, s13, -1
	s_lshr_b32 s13, s14, 24
	v_cvt_f64_u32_e32 v[10:11], v65
	v_and_b32_e32 v64, 0x1fe0, v30
	v_add_nc_u32_e32 v12, v0, v12
	s_add_i32 s13, s12, s13
	v_cmp_eq_u32_e64 s12, 0, v34
	v_lshlrev_b32_e32 v69, 9, v55
	v_subrev_nc_u32_e32 v71, 32, v64
	v_and_b32_e32 v13, 0xffffffe0, v12
	v_ashrrev_i32_e32 v82, 5, v12
	s_ashr_i32 s29, s13, 8
	v_add_nc_u32_e32 v81, 0xfffffe00, v69
	v_ldexp_f64 v[2:3], v[2:3], 32
	v_sub_nc_u32_e32 v85, v0, v13
	v_lshlrev_b32_e32 v12, 11, v82
	v_ashrrev_i32_e32 v83, 31, v71
	v_ashrrev_i32_e32 v84, 31, v81
	v_add_co_u32 v86, s13, v71, 32
	v_lshl_add_u32 v96, v85, 4, v12
	v_cmp_eq_u32_e32 vcc_lo, 32, v30
	v_add_co_ci_u32_e64 v87, null, 0, v83, s13
	v_add_co_u32 v97, s13, 0x200, v81
	v_add_nc_u32_e32 v99, v96, v12
	v_cmp_ne_u32_e64 s5, v32, v38
	v_cmp_ne_u32_e64 s6, v33, v38
	v_mov_b32_e32 v32, 0
	v_cmp_eq_u64_e64 s10, 0, v[26:27]
	v_cmp_ne_u64_e64 s11, 0, v[26:27]
	v_mov_b32_e32 v24, 0
	v_mov_b32_e32 v1, 0
	v_ashrrev_i32_e32 v54, 31, v53
	v_add_f64 v[34:35], v[2:3], v[10:11]
	v_cmp_ne_u32_e64 s7, 32, v30
	s_waitcnt vmcnt(1)
	v_cmp_ne_u32_sdwa s27, v30, v39 src0_sel:DWORD src1_sel:WORD_0
	v_mov_b32_e32 v33, 0
	v_mov_b32_e32 v66, 1
	;; [unrolled: 1-line block ×4, first 2 shown]
	v_lshlrev_b32_e32 v68, 11, v55
	v_lshlrev_b32_e32 v70, 10, v55
	;; [unrolled: 1-line block ×3, first 2 shown]
	v_add_co_ci_u32_e64 v98, null, 0, v84, s13
	v_cmp_lt_i32_e64 s13, v85, v37
	v_cmp_le_i32_e64 s14, v85, v37
	v_cmp_gt_i32_e64 s16, 1, v85
	v_ashrrev_i32_e32 v100, 31, v96
	v_ashrrev_i32_e32 v101, 31, v99
	s_mov_b32 s28, 0
	s_and_b32 s40, s18, s17
	s_xor_b32 s42, vcc_lo, -1
	s_trap 2
	s_waitcnt vmcnt(0) lgkmcnt(0)
	v_and_b32_e32 v2, 1, v36
	v_cmp_eq_u32_e64 s15, 1, v2
	s_xor_b32 s41, s15, -1
	s_branch .LBB12_77
.LBB12_76:                              ;   in Loop: Header=BB12_77 Depth=1
	s_or_b32 exec_lo, exec_lo, s17
	v_add_co_u32 v32, vcc_lo, v32, v65
	v_add_co_ci_u32_e64 v33, null, 0, v33, vcc_lo
	v_cmp_ge_u64_e32 vcc_lo, v[32:33], v[4:5]
	s_or_b32 s28, vcc_lo, s28
	s_andn2_b32 exec_lo, exec_lo, s28
	s_cbranch_execz .LBB12_999
.LBB12_77:                              ; =>This Loop Header: Depth=1
                                        ;     Child Loop BB12_96 Depth 2
                                        ;     Child Loop BB12_131 Depth 2
	;; [unrolled: 1-line block ×5, first 2 shown]
                                        ;       Child Loop BB12_220 Depth 3
                                        ;     Child Loop BB12_230 Depth 2
                                        ;     Child Loop BB12_235 Depth 2
                                        ;       Child Loop BB12_236 Depth 3
                                        ;     Child Loop BB12_247 Depth 2
                                        ;     Child Loop BB12_252 Depth 2
	;; [unrolled: 1-line block ×26, first 2 shown]
                                        ;       Child Loop BB12_308 Depth 3
                                        ;     Child Loop BB12_318 Depth 2
                                        ;     Child Loop BB12_323 Depth 2
                                        ;       Child Loop BB12_324 Depth 3
                                        ;     Child Loop BB12_335 Depth 2
                                        ;     Child Loop BB12_340 Depth 2
	;; [unrolled: 1-line block ×21, first 2 shown]
	v_sub_co_u32 v10, vcc_lo, v4, v32
	v_sub_co_ci_u32_e64 v2, null, v5, v33, vcc_lo
	v_max_f64 v[12:13], v[34:35], v[34:35]
	v_cvt_f64_u32_e32 v[10:11], v10
	s_mov_b32 s43, 0
	v_cvt_f64_u32_e32 v[2:3], v2
	v_ldexp_f64 v[2:3], v[2:3], 32
	v_add_f64 v[2:3], v[2:3], v[10:11]
	v_min_f64 v[2:3], v[12:13], v[2:3]
	v_cvt_i32_f64_e32 v10, v[2:3]
	v_max_i32_e32 v102, 0, v10
	v_cmp_gt_i32_e64 s17, 1, v10
	v_cmp_lt_i32_e64 s18, 0, v10
	v_add_nc_u32_e32 v2, 15, v102
	v_ashrrev_i32_e32 v3, 31, v2
	v_lshrrev_b32_e32 v3, 28, v3
	v_add_nc_u32_e32 v2, v2, v3
	v_and_b32_e32 v11, -16, v2
	v_add_co_u32 v2, vcc_lo, v32, v14
	v_add_co_ci_u32_e64 v3, null, v33, v15, vcc_lo
	v_max_i32_e32 v36, s29, v11
	s_and_saveexec_b32 s19, s5
	s_xor_b32 s44, exec_lo, s19
	s_cbranch_execz .LBB12_85
; %bb.78:                               ;   in Loop: Header=BB12_77 Depth=1
	s_mov_b32 s21, 0
	s_and_saveexec_b32 s19, s6
	s_xor_b32 s43, exec_lo, s19
	s_cbranch_execz .LBB12_566
; %bb.79:                               ;   in Loop: Header=BB12_77 Depth=1
	v_mov_b32_e32 v10, 0
	s_and_saveexec_b32 s45, s18
	s_cbranch_execz .LBB12_423
; %bb.80:                               ;   in Loop: Header=BB12_77 Depth=1
	s_and_saveexec_b32 s20, s4
	s_cbranch_execz .LBB12_82
; %bb.81:                               ;   in Loop: Header=BB12_77 Depth=1
	s_trap 2
	ds_read_b128 v[10:13], v0
	s_waitcnt lgkmcnt(0)
	v_add_co_u32 v37, vcc_lo, v12, v2
	v_add_co_ci_u32_e64 v38, null, v13, v3, vcc_lo
	v_cmp_ne_u64_e32 vcc_lo, 0, v[12:13]
	v_add_co_u32 v2, s19, v10, v2
	v_add_co_ci_u32_e64 v3, null, v11, v3, s19
	v_cndmask_b32_e32 v11, 0, v38, vcc_lo
	v_cndmask_b32_e32 v10, 0, v37, vcc_lo
	ds_write_b64 v0, v[2:3]
	ds_write_b64 v0, v[10:11]
.LBB12_82:                              ;   in Loop: Header=BB12_77 Depth=1
	s_or_b32 exec_lo, exec_lo, s20
	v_and_b32_e32 v2, 12, v52
	v_min_i32_e32 v36, v36, v102
	s_mov_b32 s20, exec_lo
	v_cmpx_ne_u32_e32 0, v2
	s_cbranch_execz .LBB12_123
; %bb.83:                               ;   in Loop: Header=BB12_77 Depth=1
	v_and_b32_e32 v13, 8, v52
	s_mov_b32 s21, exec_lo
	s_waitcnt vmcnt(0) lgkmcnt(1)
	v_add_co_u32 v10, vcc_lo, v28, v13
	v_add_co_ci_u32_e64 v11, null, 0, v29, vcc_lo
	v_add_co_u32 v2, vcc_lo, v8, 1
	v_add_co_ci_u32_e64 v3, null, 0, v9, vcc_lo
	v_cmpx_lt_u64_e64 v[10:11], v[2:3]
	s_cbranch_execz .LBB12_110
; %bb.84:                               ;   in Loop: Header=BB12_77 Depth=1
	v_and_b32_e32 v9, 64, v52
	s_mov_b32 s22, 0
	s_mov_b32 s56, 0
                                        ; implicit-def: $sgpr23
                                        ; implicit-def: $sgpr46
                                        ; implicit-def: $sgpr47
	v_cmp_eq_u32_e32 vcc_lo, 0, v9
	s_branch .LBB12_96
.LBB12_85:                              ;   in Loop: Header=BB12_77 Depth=1
	s_andn2_saveexec_b32 s44, s44
	s_cbranch_execz .LBB12_997
.LBB12_86:                              ;   in Loop: Header=BB12_77 Depth=1
	s_mov_b32 s21, 0
	s_mov_b32 s20, s43
	s_and_saveexec_b32 s19, s40
	s_xor_b32 s45, exec_lo, s19
	s_cbranch_execz .LBB12_615
; %bb.87:                               ;   in Loop: Header=BB12_77 Depth=1
	v_mov_b32_e32 v10, 0
	s_and_saveexec_b32 s46, s18
	s_cbranch_execz .LBB12_478
; %bb.88:                               ;   in Loop: Header=BB12_77 Depth=1
	s_and_saveexec_b32 s20, s4
	s_cbranch_execz .LBB12_90
; %bb.89:                               ;   in Loop: Header=BB12_77 Depth=1
	s_trap 2
	ds_read2_b64 v[10:13], v0 offset1:1
	ds_read_b64 v[37:38], v0
	s_waitcnt lgkmcnt(1)
	v_add_co_u32 v10, vcc_lo, v10, v2
	v_add_co_ci_u32_e64 v11, null, v11, v3, vcc_lo
	s_waitcnt lgkmcnt(0)
	v_add_co_u32 v48, vcc_lo, v37, v2
	v_add_co_ci_u32_e64 v49, null, v38, v3, vcc_lo
	v_cmp_ne_u64_e32 vcc_lo, 0, v[37:38]
	v_add_co_u32 v2, s19, v12, v2
	v_add_co_ci_u32_e64 v3, null, v13, v3, s19
	v_cndmask_b32_e32 v13, 0, v49, vcc_lo
	v_cndmask_b32_e32 v12, 0, v48, vcc_lo
	ds_write_b64 v0, v[10:11]
	ds_write_b64 v0, v[2:3]
	;; [unrolled: 1-line block ×3, first 2 shown]
.LBB12_90:                              ;   in Loop: Header=BB12_77 Depth=1
	s_or_b32 exec_lo, exec_lo, s20
	v_and_b32_e32 v2, 8, v52
	v_min_i32_e32 v36, v36, v102
	s_mov_b32 s20, exec_lo
	v_cmpx_ne_u32_e32 0, v2
	s_cbranch_execz .LBB12_147
; %bb.91:                               ;   in Loop: Header=BB12_77 Depth=1
	s_waitcnt vmcnt(0) lgkmcnt(1)
	v_add_co_u32 v10, vcc_lo, v28, 8
	v_add_co_ci_u32_e64 v11, null, 0, v29, vcc_lo
	v_add_co_u32 v2, vcc_lo, v8, 1
	v_add_co_ci_u32_e64 v3, null, 0, v9, vcc_lo
	s_mov_b32 s21, exec_lo
	v_cmpx_lt_u64_e64 v[10:11], v[2:3]
	s_cbranch_execz .LBB12_138
; %bb.92:                               ;   in Loop: Header=BB12_77 Depth=1
	v_and_b32_e32 v9, 64, v52
	s_mov_b32 s22, 0
	s_mov_b32 s57, 0
                                        ; implicit-def: $sgpr23
                                        ; implicit-def: $sgpr47
                                        ; implicit-def: $sgpr56
	v_cmp_eq_u32_e32 vcc_lo, 0, v9
	s_branch .LBB12_103
.LBB12_93:                              ;   in Loop: Header=BB12_96 Depth=2
	s_waitcnt vmcnt(0) lgkmcnt(0)
	v_add_co_u32 v10, s19, v28, v13
	v_add_co_ci_u32_e64 v11, null, 0, v29, s19
	s_or_b32 s59, s59, exec_lo
	v_cmp_ge_u64_e64 s19, v[10:11], v[2:3]
	s_orn2_b32 s58, s19, exec_lo
.LBB12_94:                              ;   in Loop: Header=BB12_96 Depth=2
	s_or_b32 exec_lo, exec_lo, s61
	s_andn2_b32 s19, s47, exec_lo
	s_and_b32 s47, s59, exec_lo
	s_andn2_b32 s46, s46, exec_lo
	s_and_b32 s58, s58, exec_lo
	s_or_b32 s47, s19, s47
	s_or_b32 s46, s46, s58
.LBB12_95:                              ;   in Loop: Header=BB12_96 Depth=2
	s_or_b32 exec_lo, exec_lo, s57
	s_and_b32 s19, exec_lo, s46
	s_or_b32 s22, s19, s22
	s_andn2_b32 s19, s23, exec_lo
	s_and_b32 s23, s47, exec_lo
	s_or_b32 s23, s19, s23
	s_andn2_b32 exec_lo, exec_lo, s22
	s_cbranch_execz .LBB12_107
.LBB12_96:                              ;   Parent Loop BB12_77 Depth=1
                                        ; =>  This Inner Loop Header: Depth=2
	s_sleep 1
	s_waitcnt vmcnt(0) lgkmcnt(0)
	flat_load_dwordx2 v[28:29], v[20:21] glc dlc
	s_or_b32 s47, s47, exec_lo
	s_or_b32 s46, s46, exec_lo
                                        ; implicit-def: $vgpr9
	s_and_saveexec_b32 s57, vcc_lo
	s_cbranch_execz .LBB12_95
; %bb.97:                               ;   in Loop: Header=BB12_96 Depth=2
	s_cmpk_lt_i32 s56, 0x270f
	s_mov_b32 s58, -1
	s_cselect_b32 s60, -1, 0
	s_cmpk_gt_i32 s56, 0x270e
	s_cbranch_scc0 .LBB12_99
; %bb.98:                               ;   in Loop: Header=BB12_96 Depth=2
	s_trap 2
	ds_read_b64 v[9:10], v0
	s_andn2_b32 s56, s60, exec_lo
	s_mov_b32 s59, 0
	s_waitcnt vmcnt(0) lgkmcnt(0)
	s_waitcnt_vscnt null, 0x0
	flat_load_dword v9, v[9:10] glc dlc
	s_waitcnt vmcnt(0) lgkmcnt(0)
	buffer_gl1_inv
	buffer_gl0_inv
	v_cmp_eq_u32_e64 s19, 0, v9
	s_and_b32 s19, s19, exec_lo
	s_or_b32 s60, s56, s19
	s_mov_b32 s56, 0
	s_and_saveexec_b32 s61, s60
	s_cbranch_execz .LBB12_94
	s_branch .LBB12_93
.LBB12_99:                              ;   in Loop: Header=BB12_96 Depth=2
	s_add_i32 s56, s56, 1
	s_mov_b32 s59, -1
                                        ; implicit-def: $vgpr9
	s_and_saveexec_b32 s61, s60
	s_cbranch_execz .LBB12_94
	s_branch .LBB12_93
.LBB12_100:                             ;   in Loop: Header=BB12_103 Depth=2
	s_waitcnt vmcnt(0) lgkmcnt(0)
	v_add_co_u32 v10, s19, v28, 8
	v_add_co_ci_u32_e64 v11, null, 0, v29, s19
	s_or_b32 s60, s60, exec_lo
	v_cmp_ge_u64_e64 s19, v[10:11], v[2:3]
	s_orn2_b32 s59, s19, exec_lo
.LBB12_101:                             ;   in Loop: Header=BB12_103 Depth=2
	s_or_b32 exec_lo, exec_lo, s62
	s_andn2_b32 s19, s56, exec_lo
	s_and_b32 s56, s60, exec_lo
	s_andn2_b32 s47, s47, exec_lo
	s_and_b32 s59, s59, exec_lo
	s_or_b32 s56, s19, s56
	s_or_b32 s47, s47, s59
.LBB12_102:                             ;   in Loop: Header=BB12_103 Depth=2
	s_or_b32 exec_lo, exec_lo, s58
	s_and_b32 s19, exec_lo, s47
	s_or_b32 s22, s19, s22
	s_andn2_b32 s19, s23, exec_lo
	s_and_b32 s23, s56, exec_lo
	s_or_b32 s23, s19, s23
	s_andn2_b32 exec_lo, exec_lo, s22
	s_cbranch_execz .LBB12_135
.LBB12_103:                             ;   Parent Loop BB12_77 Depth=1
                                        ; =>  This Inner Loop Header: Depth=2
	s_sleep 1
	s_waitcnt vmcnt(0) lgkmcnt(0)
	flat_load_dwordx2 v[28:29], v[20:21] glc dlc
	s_or_b32 s56, s56, exec_lo
	s_or_b32 s47, s47, exec_lo
                                        ; implicit-def: $vgpr9
	s_and_saveexec_b32 s58, vcc_lo
	s_cbranch_execz .LBB12_102
; %bb.104:                              ;   in Loop: Header=BB12_103 Depth=2
	s_cmpk_lt_i32 s57, 0x270f
	s_mov_b32 s59, -1
	s_cselect_b32 s61, -1, 0
	s_cmpk_gt_i32 s57, 0x270e
	s_cbranch_scc0 .LBB12_106
; %bb.105:                              ;   in Loop: Header=BB12_103 Depth=2
	s_trap 2
	ds_read_b64 v[9:10], v0
	s_andn2_b32 s57, s61, exec_lo
	s_mov_b32 s60, 0
	s_waitcnt vmcnt(0) lgkmcnt(0)
	s_waitcnt_vscnt null, 0x0
	flat_load_dword v9, v[9:10] glc dlc
	s_waitcnt vmcnt(0) lgkmcnt(0)
	buffer_gl1_inv
	buffer_gl0_inv
	v_cmp_eq_u32_e64 s19, 0, v9
	s_and_b32 s19, s19, exec_lo
	s_or_b32 s61, s57, s19
	s_mov_b32 s57, 0
	s_and_saveexec_b32 s62, s61
	s_cbranch_execz .LBB12_101
	s_branch .LBB12_100
.LBB12_106:                             ;   in Loop: Header=BB12_103 Depth=2
	s_add_i32 s57, s57, 1
	s_mov_b32 s60, -1
                                        ; implicit-def: $vgpr9
	s_and_saveexec_b32 s62, s61
	s_cbranch_execz .LBB12_101
	s_branch .LBB12_100
.LBB12_107:                             ;   in Loop: Header=BB12_77 Depth=1
	s_or_b32 exec_lo, exec_lo, s22
	s_xor_b32 s19, s23, -1
	s_and_saveexec_b32 s22, s19
	s_xor_b32 s19, exec_lo, s22
	s_cbranch_execz .LBB12_109
; %bb.108:                              ;   in Loop: Header=BB12_77 Depth=1
	v_or_b32_e32 v52, 64, v52
	s_waitcnt vmcnt(0) lgkmcnt(0)
	s_waitcnt_vscnt null, 0x0
	ds_write_b32 v0, v9
	s_trap 2
.LBB12_109:                             ;   in Loop: Header=BB12_77 Depth=1
	s_or_b32 exec_lo, exec_lo, s19
.LBB12_110:                             ;   in Loop: Header=BB12_77 Depth=1
	s_or_b32 exec_lo, exec_lo, s21
	v_and_b32_e32 v9, 0x108, v52
	;;#ASMSTART
	s_wakeup
	;;#ASMEND
	v_cmp_ne_u32_e32 vcc_lo, 0x108, v9
                                        ; implicit-def: $vgpr9_vgpr10
	s_and_saveexec_b32 s19, vcc_lo
	s_xor_b32 s19, exec_lo, s19
; %bb.111:                              ;   in Loop: Header=BB12_77 Depth=1
	v_and_b32_e32 v9, 7, v8
	v_mov_b32_e32 v10, v1
; %bb.112:                              ;   in Loop: Header=BB12_77 Depth=1
	s_andn2_saveexec_b32 s19, s19
	s_cbranch_execz .LBB12_114
; %bb.113:                              ;   in Loop: Header=BB12_77 Depth=1
	v_and_b32_e32 v9, 7, v8
	v_ashrrev_i32_e32 v37, 31, v36
	v_mov_b32_e32 v10, v1
	v_mad_u64_u32 v[11:12], null, v9, 24, v[6:7]
	flat_store_dwordx2 v[11:12], v[36:37] offset:8
.LBB12_114:                             ;   in Loop: Header=BB12_77 Depth=1
	s_or_b32 exec_lo, exec_lo, s19
	v_and_b32_e32 v8, 0x100, v52
	s_mov_b32 s19, -1
	s_mov_b32 s21, exec_lo
                                        ; implicit-def: $vgpr11_vgpr12
	v_cmpx_ne_u32_e32 0, v8
	s_cbranch_execz .LBB12_118
; %bb.115:                              ;   in Loop: Header=BB12_77 Depth=1
	v_mad_u64_u32 v[37:38], null, v9, 24, v[6:7]
	s_mov_b32 s22, exec_lo
	v_mov_b32_e32 v8, v38
	v_mad_u64_u32 v[11:12], null, v10, 24, v[8:9]
	v_mov_b32_e32 v38, v11
                                        ; implicit-def: $vgpr11_vgpr12
	flat_load_dword v8, v[37:38]
	s_waitcnt vmcnt(0) lgkmcnt(0)
	v_cmp_ne_u32_e32 vcc_lo, 1, v8
	v_cmpx_eq_u32_e32 1, v8
	s_cbranch_execz .LBB12_117
; %bb.116:                              ;   in Loop: Header=BB12_77 Depth=1
	flat_load_dword v11, v[37:38] offset:4 glc dlc
	s_waitcnt vmcnt(0) lgkmcnt(0)
	v_ashrrev_i32_e32 v12, 31, v11
.LBB12_117:                             ;   in Loop: Header=BB12_77 Depth=1
	s_or_b32 exec_lo, exec_lo, s22
	s_orn2_b32 s19, vcc_lo, exec_lo
.LBB12_118:                             ;   in Loop: Header=BB12_77 Depth=1
	s_or_b32 exec_lo, exec_lo, s21
	s_and_saveexec_b32 s21, s19
; %bb.119:                              ;   in Loop: Header=BB12_77 Depth=1
	v_mul_lo_u32 v8, v10, v53
	v_mul_lo_u32 v10, v9, v54
	v_mad_u64_u32 v[11:12], null, v9, v53, 0
	v_add3_u32 v12, v12, v10, v8
; %bb.120:                              ;   in Loop: Header=BB12_77 Depth=1
	s_or_b32 exec_lo, exec_lo, s21
	v_cmp_eq_u32_e32 vcc_lo, 0, v13
	v_and_b32_e32 v13, 0x2000, v52
	s_mov_b32 s19, exec_lo
	v_cndmask_b32_e32 v10, 0xd0, v67, vcc_lo
	v_add_co_u32 v8, vcc_lo, v22, v11
	v_add_co_ci_u32_e64 v9, null, v23, v12, vcc_lo
	v_add_nc_u32_e32 v10, v0, v10
	ds_write_b64 v10, v[8:9] offset:584
	v_cmpx_ne_u32_e32 0, v13
	s_cbranch_execz .LBB12_122
; %bb.121:                              ;   in Loop: Header=BB12_77 Depth=1
	ds_read_b64 v[8:9], v0 offset:872
	s_waitcnt lgkmcnt(0)
	v_add_co_u32 v8, vcc_lo, v8, 1
	v_add_co_ci_u32_e64 v9, null, 0, v9, vcc_lo
	ds_write_b64 v0, v[8:9] offset:872
.LBB12_122:                             ;   in Loop: Header=BB12_77 Depth=1
	s_or_b32 exec_lo, exec_lo, s19
	v_mov_b32_e32 v9, v3
	v_mov_b32_e32 v8, v2
.LBB12_123:                             ;   in Loop: Header=BB12_77 Depth=1
	s_or_b32 exec_lo, exec_lo, s20
	s_and_saveexec_b32 s19, s7
	s_cbranch_execz .LBB12_166
; %bb.124:                              ;   in Loop: Header=BB12_77 Depth=1
	s_and_saveexec_b32 s20, s27
	s_xor_b32 s20, exec_lo, s20
	s_cbranch_execz .LBB12_163
; %bb.125:                              ;   in Loop: Header=BB12_77 Depth=1
	s_and_saveexec_b32 s21, s12
	s_cbranch_execz .LBB12_162
; %bb.126:                              ;   in Loop: Header=BB12_77 Depth=1
	s_mov_b32 s23, exec_lo
	s_mov_b32 s22, exec_lo
	v_mbcnt_lo_u32_b32 v2, s23, 0
	s_waitcnt vmcnt(0) lgkmcnt(0)
	s_waitcnt_vscnt null, 0x0
	buffer_gl1_inv
	buffer_gl0_inv
	v_cmpx_eq_u32_e32 0, v2
	s_cbranch_execz .LBB12_128
; %bb.127:                              ;   in Loop: Header=BB12_77 Depth=1
	s_bcnt1_i32_b32 s23, s23
	v_mov_b32_e32 v3, v1
	v_mov_b32_e32 v2, s23
	ds_add_u64 v0, v[2:3]
	s_trap 2
.LBB12_128:                             ;   in Loop: Header=BB12_77 Depth=1
	s_or_b32 exec_lo, exec_lo, s22
	s_trap 2
	ds_read_b64 v[2:3], v0
	s_waitcnt lgkmcnt(0)
	buffer_gl0_inv
	v_add_co_u32 v24, vcc_lo, v24, v55
	v_add_co_ci_u32_e64 v25, null, 0, v25, vcc_lo
	s_mov_b32 s22, exec_lo
	v_cmpx_lt_u64_e64 v[2:3], v[24:25]
	s_cbranch_execz .LBB12_161
; %bb.129:                              ;   in Loop: Header=BB12_77 Depth=1
	s_mov_b32 s23, 0
	s_mov_b32 s56, 0
                                        ; implicit-def: $sgpr46
                                        ; implicit-def: $sgpr47
	s_inst_prefetch 0x1
	s_branch .LBB12_131
	.p2align	6
.LBB12_130:                             ;   in Loop: Header=BB12_131 Depth=2
	s_or_b32 exec_lo, exec_lo, s58
	s_and_b32 s57, exec_lo, s59
	s_or_b32 s23, s57, s23
	s_andn2_b32 s46, s46, exec_lo
	s_and_b32 s57, s47, exec_lo
	s_or_b32 s46, s46, s57
	s_andn2_b32 exec_lo, exec_lo, s23
	s_cbranch_execz .LBB12_159
.LBB12_131:                             ;   Parent Loop BB12_77 Depth=1
                                        ; =>  This Inner Loop Header: Depth=2
	s_add_i32 s56, s56, 1
	s_cmpk_lg_i32 s56, 0x2710
	s_cselect_b32 s57, -1, 0
	s_and_b32 vcc_lo, exec_lo, s57
	s_cbranch_vccz .LBB12_133
; %bb.132:                              ;   in Loop: Header=BB12_131 Depth=2
	s_mov_b32 s59, -1
	s_or_b32 s47, s47, exec_lo
	s_and_saveexec_b32 s58, s57
	s_cbranch_execz .LBB12_130
	s_branch .LBB12_134
	.p2align	6
.LBB12_133:                             ;   in Loop: Header=BB12_131 Depth=2
	s_trap 2
	ds_read_b64 v[2:3], v0
	s_andn2_b32 s57, s57, exec_lo
	s_mov_b32 s56, 0
	s_waitcnt lgkmcnt(0)
	flat_load_dword v2, v[2:3] glc dlc
	s_waitcnt vmcnt(0) lgkmcnt(0)
	buffer_gl1_inv
	buffer_gl0_inv
	v_cmp_eq_u32_e32 vcc_lo, 0, v2
	s_and_b32 s58, vcc_lo, exec_lo
	s_or_b32 s57, s57, s58
	s_mov_b32 s59, -1
	s_or_b32 s47, s47, exec_lo
	s_and_saveexec_b32 s58, s57
	s_cbranch_execz .LBB12_130
.LBB12_134:                             ;   in Loop: Header=BB12_131 Depth=2
	s_sleep 1
	s_trap 2
	ds_read_b64 v[2:3], v0
	s_waitcnt lgkmcnt(0)
	buffer_gl0_inv
	s_andn2_b32 s47, s47, exec_lo
	v_cmp_ge_u64_e32 vcc_lo, v[2:3], v[24:25]
	s_orn2_b32 s59, vcc_lo, exec_lo
	s_branch .LBB12_130
.LBB12_135:                             ;   in Loop: Header=BB12_77 Depth=1
	s_or_b32 exec_lo, exec_lo, s22
	s_xor_b32 s19, s23, -1
	s_and_saveexec_b32 s22, s19
	s_xor_b32 s19, exec_lo, s22
	s_cbranch_execz .LBB12_137
; %bb.136:                              ;   in Loop: Header=BB12_77 Depth=1
	v_or_b32_e32 v52, 64, v52
	s_waitcnt vmcnt(0) lgkmcnt(0)
	s_waitcnt_vscnt null, 0x0
	ds_write_b32 v0, v9
	s_trap 2
.LBB12_137:                             ;   in Loop: Header=BB12_77 Depth=1
	s_or_b32 exec_lo, exec_lo, s19
.LBB12_138:                             ;   in Loop: Header=BB12_77 Depth=1
	s_or_b32 exec_lo, exec_lo, s21
	v_and_b32_e32 v9, 0x100, v52
	v_and_b32_e32 v12, 7, v8
	s_mov_b32 s19, -1
	;;#ASMSTART
	s_wakeup
	;;#ASMEND
	v_cmp_ne_u32_e32 vcc_lo, 0, v9
                                        ; implicit-def: $vgpr8_vgpr9
	s_and_saveexec_b32 s21, vcc_lo
	s_cbranch_execz .LBB12_142
; %bb.139:                              ;   in Loop: Header=BB12_77 Depth=1
	v_mad_u64_u32 v[10:11], null, v12, 24, v[6:7]
	v_ashrrev_i32_e32 v37, 31, v36
	flat_load_dword v8, v[10:11]
	flat_store_dwordx2 v[10:11], v[36:37] offset:8
	s_waitcnt vmcnt(0) lgkmcnt(1)
	v_cmp_eq_u32_e64 s19, 1, v8
	v_cmp_ne_u32_e32 vcc_lo, 1, v8
                                        ; implicit-def: $vgpr8_vgpr9
	s_and_saveexec_b32 s22, s19
	s_cbranch_execz .LBB12_141
; %bb.140:                              ;   in Loop: Header=BB12_77 Depth=1
	flat_load_dword v8, v[10:11] offset:4 glc dlc
	s_waitcnt vmcnt(0) lgkmcnt(0)
	v_ashrrev_i32_e32 v9, 31, v8
.LBB12_141:                             ;   in Loop: Header=BB12_77 Depth=1
	s_or_b32 exec_lo, exec_lo, s22
	s_orn2_b32 s19, vcc_lo, exec_lo
.LBB12_142:                             ;   in Loop: Header=BB12_77 Depth=1
	s_or_b32 exec_lo, exec_lo, s21
	s_and_saveexec_b32 s21, s19
; %bb.143:                              ;   in Loop: Header=BB12_77 Depth=1
	v_mad_i64_i32 v[8:9], null, v12, v53, 0
; %bb.144:                              ;   in Loop: Header=BB12_77 Depth=1
	s_or_b32 exec_lo, exec_lo, s21
	v_add_co_u32 v8, vcc_lo, v22, v8
	v_and_b32_e32 v10, 0x2000, v52
	v_add_co_ci_u32_e64 v9, null, v23, v9, vcc_lo
	s_mov_b32 s19, exec_lo
	ds_write_b64 v0, v[8:9] offset:792
	v_cmpx_ne_u32_e32 0, v10
	s_cbranch_execz .LBB12_146
; %bb.145:                              ;   in Loop: Header=BB12_77 Depth=1
	ds_read_b64 v[8:9], v0 offset:872
	s_waitcnt lgkmcnt(0)
	v_add_co_u32 v8, vcc_lo, v8, 1
	v_add_co_ci_u32_e64 v9, null, 0, v9, vcc_lo
	ds_write_b64 v0, v[8:9] offset:872
.LBB12_146:                             ;   in Loop: Header=BB12_77 Depth=1
	s_or_b32 exec_lo, exec_lo, s19
	v_mov_b32_e32 v9, v3
	v_mov_b32_e32 v8, v2
.LBB12_147:                             ;   in Loop: Header=BB12_77 Depth=1
	s_or_b32 exec_lo, exec_lo, s20
	s_and_saveexec_b32 s19, s7
	s_cbranch_execz .LBB12_185
; %bb.148:                              ;   in Loop: Header=BB12_77 Depth=1
	s_and_saveexec_b32 s20, s27
	s_xor_b32 s20, exec_lo, s20
	s_cbranch_execz .LBB12_182
; %bb.149:                              ;   in Loop: Header=BB12_77 Depth=1
	s_and_saveexec_b32 s21, s12
	s_cbranch_execz .LBB12_181
; %bb.150:                              ;   in Loop: Header=BB12_77 Depth=1
	s_mov_b32 s23, exec_lo
	s_mov_b32 s22, exec_lo
	v_mbcnt_lo_u32_b32 v2, s23, 0
	s_waitcnt vmcnt(0) lgkmcnt(0)
	s_waitcnt_vscnt null, 0x0
	buffer_gl1_inv
	buffer_gl0_inv
	v_cmpx_eq_u32_e32 0, v2
	s_cbranch_execz .LBB12_152
; %bb.151:                              ;   in Loop: Header=BB12_77 Depth=1
	s_bcnt1_i32_b32 s23, s23
	v_mov_b32_e32 v3, v1
	v_mov_b32_e32 v2, s23
	ds_add_u64 v0, v[2:3]
	s_trap 2
.LBB12_152:                             ;   in Loop: Header=BB12_77 Depth=1
	s_or_b32 exec_lo, exec_lo, s22
	s_trap 2
	ds_read_b64 v[2:3], v0
	s_waitcnt lgkmcnt(0)
	buffer_gl0_inv
	v_add_co_u32 v24, vcc_lo, v24, v55
	v_add_co_ci_u32_e64 v25, null, 0, v25, vcc_lo
	s_mov_b32 s22, exec_lo
	v_cmpx_lt_u64_e64 v[2:3], v[24:25]
	s_cbranch_execz .LBB12_180
; %bb.153:                              ;   in Loop: Header=BB12_77 Depth=1
	s_mov_b32 s23, 0
	s_mov_b32 s57, 0
                                        ; implicit-def: $sgpr47
                                        ; implicit-def: $sgpr56
	s_inst_prefetch 0x1
	s_branch .LBB12_155
	.p2align	6
.LBB12_154:                             ;   in Loop: Header=BB12_155 Depth=2
	s_or_b32 exec_lo, exec_lo, s59
	s_and_b32 s58, exec_lo, s60
	s_or_b32 s23, s58, s23
	s_andn2_b32 s47, s47, exec_lo
	s_and_b32 s58, s56, exec_lo
	s_or_b32 s47, s47, s58
	s_andn2_b32 exec_lo, exec_lo, s23
	s_cbranch_execz .LBB12_178
.LBB12_155:                             ;   Parent Loop BB12_77 Depth=1
                                        ; =>  This Inner Loop Header: Depth=2
	s_add_i32 s57, s57, 1
	s_cmpk_lg_i32 s57, 0x2710
	s_cselect_b32 s58, -1, 0
	s_and_b32 vcc_lo, exec_lo, s58
	s_cbranch_vccz .LBB12_157
; %bb.156:                              ;   in Loop: Header=BB12_155 Depth=2
	s_mov_b32 s60, -1
	s_or_b32 s56, s56, exec_lo
	s_and_saveexec_b32 s59, s58
	s_cbranch_execz .LBB12_154
	s_branch .LBB12_158
	.p2align	6
.LBB12_157:                             ;   in Loop: Header=BB12_155 Depth=2
	s_trap 2
	ds_read_b64 v[2:3], v0
	s_andn2_b32 s58, s58, exec_lo
	s_mov_b32 s57, 0
	s_waitcnt lgkmcnt(0)
	flat_load_dword v2, v[2:3] glc dlc
	s_waitcnt vmcnt(0) lgkmcnt(0)
	buffer_gl1_inv
	buffer_gl0_inv
	v_cmp_eq_u32_e32 vcc_lo, 0, v2
	s_and_b32 s59, vcc_lo, exec_lo
	s_or_b32 s58, s58, s59
	s_mov_b32 s60, -1
	s_or_b32 s56, s56, exec_lo
	s_and_saveexec_b32 s59, s58
	s_cbranch_execz .LBB12_154
.LBB12_158:                             ;   in Loop: Header=BB12_155 Depth=2
	s_sleep 1
	s_trap 2
	ds_read_b64 v[2:3], v0
	s_waitcnt lgkmcnt(0)
	buffer_gl0_inv
	s_andn2_b32 s56, s56, exec_lo
	v_cmp_ge_u64_e32 vcc_lo, v[2:3], v[24:25]
	s_orn2_b32 s60, vcc_lo, exec_lo
	s_branch .LBB12_154
.LBB12_159:                             ;   in Loop: Header=BB12_77 Depth=1
	s_inst_prefetch 0x2
	s_or_b32 exec_lo, exec_lo, s23
	s_and_saveexec_b32 s23, s46
	s_xor_b32 s23, exec_lo, s23
	s_cbranch_execz .LBB12_161
; %bb.160:                              ;   in Loop: Header=BB12_77 Depth=1
	ds_write_b32 v0, v66
	s_trap 2
.LBB12_161:                             ;   in Loop: Header=BB12_77 Depth=1
	s_or_b32 exec_lo, exec_lo, s22
	;;#ASMSTART
	s_wakeup
	;;#ASMEND
.LBB12_162:                             ;   in Loop: Header=BB12_77 Depth=1
	s_or_b32 exec_lo, exec_lo, s21
.LBB12_163:                             ;   in Loop: Header=BB12_77 Depth=1
	s_andn2_saveexec_b32 s20, s20
	s_cbranch_execz .LBB12_165
; %bb.164:                              ;   in Loop: Header=BB12_77 Depth=1
	s_waitcnt vmcnt(0) lgkmcnt(0)
	s_waitcnt_vscnt null, 0x0
	buffer_gl1_inv
	buffer_gl0_inv
	s_barrier
.LBB12_165:                             ;   in Loop: Header=BB12_77 Depth=1
	s_or_b32 exec_lo, exec_lo, s20
.LBB12_166:                             ;   in Loop: Header=BB12_77 Depth=1
	s_or_b32 exec_lo, exec_lo, s19
	s_trap 2
	ds_read_b32 v10, v0
	v_and_b32_e32 v2, 0x4000, v52
	v_cmp_ne_u32_e32 vcc_lo, 0, v2
	s_and_b32 s20, s42, vcc_lo
	s_and_saveexec_b32 s19, s20
	s_cbranch_execz .LBB12_204
; %bb.167:                              ;   in Loop: Header=BB12_77 Depth=1
	s_and_saveexec_b32 s20, s27
	s_xor_b32 s20, exec_lo, s20
	s_cbranch_execz .LBB12_201
; %bb.168:                              ;   in Loop: Header=BB12_77 Depth=1
	s_and_saveexec_b32 s21, s12
	s_cbranch_execz .LBB12_200
; %bb.169:                              ;   in Loop: Header=BB12_77 Depth=1
	s_mov_b32 s23, exec_lo
	s_mov_b32 s22, exec_lo
	v_mbcnt_lo_u32_b32 v2, s23, 0
	s_waitcnt vmcnt(0) lgkmcnt(0)
	s_waitcnt_vscnt null, 0x0
	buffer_gl1_inv
	buffer_gl0_inv
	v_cmpx_eq_u32_e32 0, v2
	s_cbranch_execz .LBB12_171
; %bb.170:                              ;   in Loop: Header=BB12_77 Depth=1
	s_bcnt1_i32_b32 s23, s23
	v_mov_b32_e32 v3, v1
	v_mov_b32_e32 v2, s23
	ds_add_u64 v0, v[2:3]
	s_trap 2
.LBB12_171:                             ;   in Loop: Header=BB12_77 Depth=1
	s_or_b32 exec_lo, exec_lo, s22
	s_trap 2
	ds_read_b64 v[2:3], v0
	s_waitcnt lgkmcnt(0)
	buffer_gl0_inv
	v_add_co_u32 v24, vcc_lo, v24, v55
	v_add_co_ci_u32_e64 v25, null, 0, v25, vcc_lo
	s_mov_b32 s22, exec_lo
	v_cmpx_lt_u64_e64 v[2:3], v[24:25]
	s_cbranch_execz .LBB12_199
; %bb.172:                              ;   in Loop: Header=BB12_77 Depth=1
	s_mov_b32 s23, 0
	s_mov_b32 s56, 0
                                        ; implicit-def: $sgpr46
                                        ; implicit-def: $sgpr47
	s_inst_prefetch 0x1
	s_branch .LBB12_174
	.p2align	6
.LBB12_173:                             ;   in Loop: Header=BB12_174 Depth=2
	s_or_b32 exec_lo, exec_lo, s58
	s_and_b32 s57, exec_lo, s59
	s_or_b32 s23, s57, s23
	s_andn2_b32 s46, s46, exec_lo
	s_and_b32 s57, s47, exec_lo
	s_or_b32 s46, s46, s57
	s_andn2_b32 exec_lo, exec_lo, s23
	s_cbranch_execz .LBB12_197
.LBB12_174:                             ;   Parent Loop BB12_77 Depth=1
                                        ; =>  This Inner Loop Header: Depth=2
	s_add_i32 s56, s56, 1
	s_cmpk_lg_i32 s56, 0x2710
	s_cselect_b32 s57, -1, 0
	s_and_b32 vcc_lo, exec_lo, s57
	s_cbranch_vccz .LBB12_176
; %bb.175:                              ;   in Loop: Header=BB12_174 Depth=2
	s_mov_b32 s59, -1
	s_or_b32 s47, s47, exec_lo
	s_and_saveexec_b32 s58, s57
	s_cbranch_execz .LBB12_173
	s_branch .LBB12_177
	.p2align	6
.LBB12_176:                             ;   in Loop: Header=BB12_174 Depth=2
	s_trap 2
	ds_read_b64 v[2:3], v0
	s_andn2_b32 s57, s57, exec_lo
	s_mov_b32 s56, 0
	s_waitcnt lgkmcnt(0)
	flat_load_dword v2, v[2:3] glc dlc
	s_waitcnt vmcnt(0) lgkmcnt(0)
	buffer_gl1_inv
	buffer_gl0_inv
	v_cmp_eq_u32_e32 vcc_lo, 0, v2
	s_and_b32 s58, vcc_lo, exec_lo
	s_or_b32 s57, s57, s58
	s_mov_b32 s59, -1
	s_or_b32 s47, s47, exec_lo
	s_and_saveexec_b32 s58, s57
	s_cbranch_execz .LBB12_173
.LBB12_177:                             ;   in Loop: Header=BB12_174 Depth=2
	s_sleep 1
	s_trap 2
	ds_read_b64 v[2:3], v0
	s_waitcnt lgkmcnt(0)
	buffer_gl0_inv
	s_andn2_b32 s47, s47, exec_lo
	v_cmp_ge_u64_e32 vcc_lo, v[2:3], v[24:25]
	s_orn2_b32 s59, vcc_lo, exec_lo
	s_branch .LBB12_173
.LBB12_178:                             ;   in Loop: Header=BB12_77 Depth=1
	s_inst_prefetch 0x2
	s_or_b32 exec_lo, exec_lo, s23
	s_and_saveexec_b32 s23, s47
	s_xor_b32 s23, exec_lo, s23
	s_cbranch_execz .LBB12_180
; %bb.179:                              ;   in Loop: Header=BB12_77 Depth=1
	ds_write_b32 v0, v66
	s_trap 2
.LBB12_180:                             ;   in Loop: Header=BB12_77 Depth=1
	s_or_b32 exec_lo, exec_lo, s22
	;;#ASMSTART
	s_wakeup
	;;#ASMEND
.LBB12_181:                             ;   in Loop: Header=BB12_77 Depth=1
	s_or_b32 exec_lo, exec_lo, s21
.LBB12_182:                             ;   in Loop: Header=BB12_77 Depth=1
	s_andn2_saveexec_b32 s20, s20
	s_cbranch_execz .LBB12_184
; %bb.183:                              ;   in Loop: Header=BB12_77 Depth=1
	s_waitcnt vmcnt(0) lgkmcnt(0)
	s_waitcnt_vscnt null, 0x0
	buffer_gl1_inv
	buffer_gl0_inv
	s_barrier
.LBB12_184:                             ;   in Loop: Header=BB12_77 Depth=1
	s_or_b32 exec_lo, exec_lo, s20
.LBB12_185:                             ;   in Loop: Header=BB12_77 Depth=1
	s_or_b32 exec_lo, exec_lo, s19
	s_trap 2
	ds_read_b32 v10, v0
	v_and_b32_e32 v2, 0x4000, v52
	v_cmp_ne_u32_e32 vcc_lo, 0, v2
	s_and_b32 s20, s42, vcc_lo
	s_and_saveexec_b32 s19, s20
	s_cbranch_execz .LBB12_292
; %bb.186:                              ;   in Loop: Header=BB12_77 Depth=1
	s_and_saveexec_b32 s20, s27
	s_xor_b32 s20, exec_lo, s20
	s_cbranch_execz .LBB12_289
; %bb.187:                              ;   in Loop: Header=BB12_77 Depth=1
	s_and_saveexec_b32 s21, s12
	s_cbranch_execz .LBB12_288
; %bb.188:                              ;   in Loop: Header=BB12_77 Depth=1
	s_mov_b32 s23, exec_lo
	s_mov_b32 s22, exec_lo
	v_mbcnt_lo_u32_b32 v2, s23, 0
	s_waitcnt vmcnt(0) lgkmcnt(0)
	s_waitcnt_vscnt null, 0x0
	buffer_gl1_inv
	buffer_gl0_inv
	v_cmpx_eq_u32_e32 0, v2
	s_cbranch_execz .LBB12_190
; %bb.189:                              ;   in Loop: Header=BB12_77 Depth=1
	s_bcnt1_i32_b32 s23, s23
	v_mov_b32_e32 v3, v1
	v_mov_b32_e32 v2, s23
	ds_add_u64 v0, v[2:3]
	s_trap 2
.LBB12_190:                             ;   in Loop: Header=BB12_77 Depth=1
	s_or_b32 exec_lo, exec_lo, s22
	s_trap 2
	ds_read_b64 v[2:3], v0
	s_waitcnt lgkmcnt(0)
	buffer_gl0_inv
	v_add_co_u32 v24, vcc_lo, v24, v55
	v_add_co_ci_u32_e64 v25, null, 0, v25, vcc_lo
	s_mov_b32 s22, exec_lo
	v_cmpx_lt_u64_e64 v[2:3], v[24:25]
	s_cbranch_execz .LBB12_287
; %bb.191:                              ;   in Loop: Header=BB12_77 Depth=1
	s_mov_b32 s23, 0
	s_mov_b32 s57, 0
                                        ; implicit-def: $sgpr47
                                        ; implicit-def: $sgpr56
	s_inst_prefetch 0x1
	s_branch .LBB12_193
	.p2align	6
.LBB12_192:                             ;   in Loop: Header=BB12_193 Depth=2
	s_or_b32 exec_lo, exec_lo, s59
	s_and_b32 s58, exec_lo, s60
	s_or_b32 s23, s58, s23
	s_andn2_b32 s47, s47, exec_lo
	s_and_b32 s58, s56, exec_lo
	s_or_b32 s47, s47, s58
	s_andn2_b32 exec_lo, exec_lo, s23
	s_cbranch_execz .LBB12_285
.LBB12_193:                             ;   Parent Loop BB12_77 Depth=1
                                        ; =>  This Inner Loop Header: Depth=2
	s_add_i32 s57, s57, 1
	s_cmpk_lg_i32 s57, 0x2710
	s_cselect_b32 s58, -1, 0
	s_and_b32 vcc_lo, exec_lo, s58
	s_cbranch_vccz .LBB12_195
; %bb.194:                              ;   in Loop: Header=BB12_193 Depth=2
	s_mov_b32 s60, -1
	s_or_b32 s56, s56, exec_lo
	s_and_saveexec_b32 s59, s58
	s_cbranch_execz .LBB12_192
	s_branch .LBB12_196
	.p2align	6
.LBB12_195:                             ;   in Loop: Header=BB12_193 Depth=2
	s_trap 2
	ds_read_b64 v[2:3], v0
	s_andn2_b32 s58, s58, exec_lo
	s_mov_b32 s57, 0
	s_waitcnt lgkmcnt(0)
	flat_load_dword v2, v[2:3] glc dlc
	s_waitcnt vmcnt(0) lgkmcnt(0)
	buffer_gl1_inv
	buffer_gl0_inv
	v_cmp_eq_u32_e32 vcc_lo, 0, v2
	s_and_b32 s59, vcc_lo, exec_lo
	s_or_b32 s58, s58, s59
	s_mov_b32 s60, -1
	s_or_b32 s56, s56, exec_lo
	s_and_saveexec_b32 s59, s58
	s_cbranch_execz .LBB12_192
.LBB12_196:                             ;   in Loop: Header=BB12_193 Depth=2
	s_sleep 1
	s_trap 2
	ds_read_b64 v[2:3], v0
	s_waitcnt lgkmcnt(0)
	buffer_gl0_inv
	s_andn2_b32 s56, s56, exec_lo
	v_cmp_ge_u64_e32 vcc_lo, v[2:3], v[24:25]
	s_orn2_b32 s60, vcc_lo, exec_lo
	s_branch .LBB12_192
.LBB12_197:                             ;   in Loop: Header=BB12_77 Depth=1
	s_inst_prefetch 0x2
	s_or_b32 exec_lo, exec_lo, s23
	s_and_saveexec_b32 s23, s46
	s_xor_b32 s23, exec_lo, s23
	s_cbranch_execz .LBB12_199
; %bb.198:                              ;   in Loop: Header=BB12_77 Depth=1
	ds_write_b32 v0, v66
	s_trap 2
.LBB12_199:                             ;   in Loop: Header=BB12_77 Depth=1
	s_or_b32 exec_lo, exec_lo, s22
	;;#ASMSTART
	s_wakeup
	;;#ASMEND
.LBB12_200:                             ;   in Loop: Header=BB12_77 Depth=1
	s_or_b32 exec_lo, exec_lo, s21
.LBB12_201:                             ;   in Loop: Header=BB12_77 Depth=1
	s_andn2_saveexec_b32 s20, s20
	s_cbranch_execz .LBB12_203
; %bb.202:                              ;   in Loop: Header=BB12_77 Depth=1
	s_waitcnt vmcnt(0) lgkmcnt(0)
	s_waitcnt_vscnt null, 0x0
	buffer_gl1_inv
	buffer_gl0_inv
	s_barrier
.LBB12_203:                             ;   in Loop: Header=BB12_77 Depth=1
	s_or_b32 exec_lo, exec_lo, s20
.LBB12_204:                             ;   in Loop: Header=BB12_77 Depth=1
	s_or_b32 exec_lo, exec_lo, s19
	s_trap 2
	ds_read_b64 v[2:3], v0
	s_waitcnt lgkmcnt(0)
	v_cmp_eq_u64_e32 vcc_lo, 0, v[2:3]
	s_cbranch_vccnz .LBB12_273
; %bb.205:                              ;   in Loop: Header=BB12_77 Depth=1
	s_trap 2
	ds_read_b64 v[37:38], v0
	s_waitcnt lgkmcnt(0)
	v_cmp_eq_u64_e32 vcc_lo, 0, v[37:38]
	s_cbranch_vccnz .LBB12_273
; %bb.206:                              ;   in Loop: Header=BB12_77 Depth=1
	s_trap 2
	ds_read_b64 v[48:49], v0
	v_cmp_eq_u32_e64 s19, 0, v10
	v_cndmask_b32_e64 v103, 0, v36, s19
	s_mov_b32 s19, -1
	s_waitcnt lgkmcnt(0)
	v_cmp_ne_u64_e32 vcc_lo, 0, v[48:49]
	s_cbranch_vccz .LBB12_239
; %bb.207:                              ;   in Loop: Header=BB12_77 Depth=1
	s_and_saveexec_b32 s20, s13
	s_cbranch_execz .LBB12_209
; %bb.208:                              ;   in Loop: Header=BB12_77 Depth=1
	ds_read_b32 v10, v0 offset:720
	s_waitcnt lgkmcnt(0)
	v_and_b32_e32 v10, 15, v10
	v_cmp_eq_u32_e32 vcc_lo, 0, v10
	s_orn2_b32 s19, vcc_lo, exec_lo
.LBB12_209:                             ;   in Loop: Header=BB12_77 Depth=1
	s_or_b32 exec_lo, exec_lo, s20
	s_and_saveexec_b32 s20, s14
	s_cbranch_execz .LBB12_211
; %bb.210:                              ;   in Loop: Header=BB12_77 Depth=1
	ds_read_b32 v10, v0 offset:784
	s_waitcnt lgkmcnt(0)
	v_and_b32_e32 v10, 15, v10
	v_cmp_eq_u32_e32 vcc_lo, 0, v10
	s_and_b32 s21, s19, vcc_lo
	s_andn2_b32 s19, s19, exec_lo
	s_and_b32 s21, s21, exec_lo
	s_or_b32 s19, s19, s21
.LBB12_211:                             ;   in Loop: Header=BB12_77 Depth=1
	s_or_b32 exec_lo, exec_lo, s20
	s_xor_b32 s19, s19, -1
	v_mov_b32_e32 v50, 0
	v_cndmask_b32_e64 v10, 0, 1, s19
	v_mov_b32_e32 v51, v103
	v_mov_b32_e32 v112, v0
	s_mov_b32 s19, -1
	v_cmp_ne_u32_e32 vcc_lo, 0, v10
	v_mov_b32_e32 v10, v82
	s_cbranch_vccnz .LBB12_227
; %bb.212:                              ;   in Loop: Header=BB12_77 Depth=1
	v_ashrrev_i32_e32 v10, 31, v103
	s_mov_b32 s20, exec_lo
	v_lshrrev_b32_e32 v10, 21, v10
	v_add_nc_u32_e32 v10, v103, v10
	v_ashrrev_i32_e32 v112, 11, v10
	v_sub_nc_u32_e32 v114, v112, v82
	v_cmpx_lt_i32_e32 0, v114
	s_cbranch_execz .LBB12_216
; %bb.213:                              ;   in Loop: Header=BB12_77 Depth=1
	v_add_co_u32 v10, vcc_lo, v2, v96
	v_add_co_ci_u32_e64 v11, null, v3, v100, vcc_lo
	v_add_co_u32 v12, vcc_lo, v37, v96
	v_add_co_ci_u32_e64 v13, null, v38, v100, vcc_lo
	v_add_co_u32 v50, vcc_lo, v48, v96
	v_add_co_ci_u32_e64 v51, null, v49, v100, vcc_lo
	s_mov_b32 s21, 0
	s_inst_prefetch 0x1
	.p2align	6
.LBB12_214:                             ;   Parent Loop BB12_77 Depth=1
                                        ; =>  This Inner Loop Header: Depth=2
	s_clause 0x3
	global_load_dwordx4 v[115:118], v[10:11], off slc
	global_load_dwordx4 v[40:43], v[10:11], off offset:512 slc
	global_load_dwordx4 v[44:47], v[10:11], off offset:1024 slc
	;; [unrolled: 1-line block ×3, first 2 shown]
	v_sub_nc_u32_e32 v114, v114, v55
	v_add_co_u32 v10, vcc_lo, v10, v68
	v_add_co_ci_u32_e64 v11, null, 0, v11, vcc_lo
	v_cmp_gt_i32_e32 vcc_lo, 1, v114
	s_waitcnt vmcnt(3)
	global_store_dwordx4 v[12:13], v[115:118], off glc slc
	s_waitcnt vmcnt(2)
	global_store_dwordx4 v[12:13], v[40:43], off offset:512 glc slc
	s_waitcnt vmcnt(1)
	global_store_dwordx4 v[12:13], v[44:47], off offset:1024 glc slc
	s_waitcnt vmcnt(0)
	global_store_dwordx4 v[12:13], v[56:59], off offset:1536 glc slc
	global_store_dwordx4 v[50:51], v[115:118], off glc slc
	global_store_dwordx4 v[50:51], v[40:43], off offset:512 glc slc
	global_store_dwordx4 v[50:51], v[44:47], off offset:1024 glc slc
	global_store_dwordx4 v[50:51], v[56:59], off offset:1536 glc slc
	v_add_co_u32 v12, s19, v12, v68
	v_add_co_ci_u32_e64 v13, null, 0, v13, s19
	v_add_co_u32 v50, s19, v50, v68
	v_add_co_ci_u32_e64 v51, null, 0, v51, s19
	s_or_b32 s21, vcc_lo, s21
	s_andn2_b32 exec_lo, exec_lo, s21
	s_cbranch_execnz .LBB12_214
; %bb.215:                              ;   in Loop: Header=BB12_77 Depth=1
	s_inst_prefetch 0x2
	s_or_b32 exec_lo, exec_lo, s21
.LBB12_216:                             ;   in Loop: Header=BB12_77 Depth=1
	s_or_b32 exec_lo, exec_lo, s20
	v_lshlrev_b32_e32 v113, 11, v112
	v_mov_b32_e32 v50, 0
	s_mov_b32 s19, 0
	s_mov_b32 s46, exec_lo
                                        ; implicit-def: $vgpr51
                                        ; implicit-def: $vgpr112
                                        ; implicit-def: $vgpr10
	v_cmpx_ne_u32_e64 v103, v113
	s_cbranch_execz .LBB12_226
; %bb.217:                              ;   in Loop: Header=BB12_77 Depth=1
	v_lshlrev_b32_e32 v10, 5, v114
	v_sub_nc_u32_e32 v12, v103, v113
	s_mov_b32 s47, exec_lo
	v_sub_nc_u32_e32 v10, v85, v10
	v_ashrrev_i32_e32 v13, 31, v12
	v_ashrrev_i32_e32 v11, 31, v10
	v_lshrrev_b32_e32 v13, 23, v13
	v_lshrrev_b32_e32 v11, 27, v11
	v_add_nc_u32_e32 v13, v12, v13
	v_add_nc_u32_e32 v11, v10, v11
	v_and_b32_e32 v114, 0xfffffe00, v13
	v_ashrrev_i32_e32 v13, 9, v13
	v_and_b32_e32 v50, 0xffffffe0, v11
	v_sub_nc_u32_e32 v116, v12, v114
	v_ashrrev_i32_e32 v11, 5, v11
	v_sub_nc_u32_e32 v115, v10, v50
	v_cmp_lt_i32_e64 s19, 15, v116
	v_lshlrev_b32_e32 v10, 4, v115
	v_add_co_ci_u32_e64 v13, null, 0, v13, s19
	v_lshl_add_u32 v10, v11, 9, v10
	v_sub_nc_u32_e32 v117, v13, v11
	v_sub_nc_u32_e32 v112, v12, v10
	v_cmpx_lt_i32_e32 15, v112
	s_cbranch_execz .LBB12_223
; %bb.218:                              ;   in Loop: Header=BB12_77 Depth=1
	v_add_nc_u32_e32 v10, v10, v113
	s_mov_b32 s56, 0
	v_ashrrev_i32_e32 v11, 31, v10
	v_add_co_u32 v50, vcc_lo, v10, v2
	v_add_co_ci_u32_e64 v51, null, v11, v3, vcc_lo
	v_add_co_u32 v118, vcc_lo, v10, v37
	v_add_co_ci_u32_e64 v119, null, v11, v38, vcc_lo
	;; [unrolled: 2-line block ×3, first 2 shown]
	s_inst_prefetch 0x1
	.p2align	6
.LBB12_219:                             ;   Parent Loop BB12_77 Depth=1
                                        ; =>  This Loop Header: Depth=2
                                        ;       Child Loop BB12_220 Depth 3
	global_load_dwordx4 v[10:13], v[50:51], off slc
	s_mov_b64 s[22:23], 0
	s_mov_b32 s57, -1
	.p2align	6
.LBB12_220:                             ;   Parent Loop BB12_77 Depth=1
                                        ;     Parent Loop BB12_219 Depth=2
                                        ; =>    This Inner Loop Header: Depth=3
	s_cmp_eq_u32 s22, 1
	s_cselect_b32 vcc_lo, -1, 0
	s_cmp_eq_u32 s22, 0
	v_cndmask_b32_e32 v42, v118, v40, vcc_lo
	v_cndmask_b32_e32 v43, v119, v41, vcc_lo
	s_mov_b64 s[22:23], 1
	v_add_co_u32 v44, s20, 0x200, v42
	v_add_co_ci_u32_e64 v45, null, 0, v43, s20
	s_cselect_b32 s20, -1, 0
	v_cndmask_b32_e32 v40, v40, v44, vcc_lo
	v_cndmask_b32_e64 v118, v118, v44, s20
	v_cndmask_b32_e32 v41, v41, v45, vcc_lo
	v_cndmask_b32_e64 v119, v119, v45, s20
	s_and_b32 s21, exec_lo, s57
	s_mov_b32 s57, 0
	s_mov_b32 vcc_lo, s21
	s_waitcnt vmcnt(0)
	global_store_dwordx4 v[42:43], v[10:13], off glc slc
	s_cbranch_vccnz .LBB12_220
; %bb.221:                              ;   in Loop: Header=BB12_219 Depth=2
	v_sub_nc_u32_e32 v112, v112, v69
	v_add_co_u32 v118, vcc_lo, v118, v81
	v_add_co_ci_u32_e64 v119, null, v119, v84, vcc_lo
	v_add_co_u32 v40, vcc_lo, v40, v81
	v_add_co_ci_u32_e64 v41, null, v41, v84, vcc_lo
	v_cmp_gt_i32_e32 vcc_lo, 16, v112
	v_add_co_u32 v50, s20, v97, v50
	v_add_co_ci_u32_e64 v51, null, v98, v51, s20
	v_sub_nc_u32_e32 v117, v117, v55
	s_or_b32 s56, vcc_lo, s56
	s_andn2_b32 exec_lo, exec_lo, s56
	s_cbranch_execnz .LBB12_219
; %bb.222:                              ;   in Loop: Header=BB12_77 Depth=1
	s_inst_prefetch 0x2
	s_or_b32 exec_lo, exec_lo, s56
.LBB12_223:                             ;   in Loop: Header=BB12_77 Depth=1
	s_or_b32 exec_lo, exec_lo, s47
	v_and_b32_e32 v11, 15, v103
	v_mov_b32_e32 v50, 0
	s_mov_b32 s20, 0
	s_mov_b32 s21, exec_lo
                                        ; implicit-def: $vgpr112
                                        ; implicit-def: $vgpr10
	v_cndmask_b32_e64 v51, v116, v11, s19
	v_cmpx_ne_u32_e32 0, v51
	s_cbranch_execz .LBB12_225
; %bb.224:                              ;   in Loop: Header=BB12_77 Depth=1
	v_cmp_lt_i32_e32 vcc_lo, 0, v117
	v_sub_nc_u32_e32 v11, v116, v11
	s_mov_b32 s20, exec_lo
	v_cndmask_b32_e32 v10, 0, v55, vcc_lo
	v_cndmask_b32_e64 v11, 0, v11, s19
	v_sub_nc_u32_e32 v10, v10, v117
	v_add3_u32 v50, v114, v113, v11
	v_lshl_add_u32 v112, v10, 5, v115
	v_ashrrev_i32_e32 v10, 31, v112
	v_lshrrev_b32_e32 v10, 27, v10
	v_add_nc_u32_e32 v10, v112, v10
	v_ashrrev_i32_e32 v10, 5, v10
.LBB12_225:                             ;   in Loop: Header=BB12_77 Depth=1
	s_or_b32 exec_lo, exec_lo, s21
	s_and_b32 s19, s20, exec_lo
.LBB12_226:                             ;   in Loop: Header=BB12_77 Depth=1
	s_or_b32 exec_lo, exec_lo, s46
.LBB12_227:                             ;   in Loop: Header=BB12_77 Depth=1
	s_and_saveexec_b32 s21, s19
	s_cbranch_execz .LBB12_238
; %bb.228:                              ;   in Loop: Header=BB12_77 Depth=1
	v_ashrrev_i32_e32 v11, 31, v51
	v_ashrrev_i32_e32 v114, 31, v112
	s_mov_b32 s19, exec_lo
	v_lshrrev_b32_e32 v11, 22, v11
	v_add_nc_u32_e32 v11, v51, v11
	v_ashrrev_i32_e32 v115, 10, v11
	v_sub_nc_u32_e32 v113, v115, v10
	v_cmpx_lt_i32_e32 0, v113
	s_cbranch_execz .LBB12_232
; %bb.229:                              ;   in Loop: Header=BB12_77 Depth=1
	v_lshrrev_b32_e32 v11, 27, v114
	v_lshlrev_b32_e32 v10, 10, v10
	v_add_co_u32 v118, vcc_lo, 0x3e0, v2
	v_add_co_ci_u32_e64 v119, null, 0, v3, vcc_lo
	v_add_nc_u32_e32 v11, v112, v11
	s_mov_b32 s20, 0
	v_and_b32_e32 v11, 0xffffffe0, v11
	v_sub_nc_u32_e32 v11, v112, v11
	v_add3_u32 v116, v50, v11, v10
	v_ashrrev_i32_e32 v117, 31, v116
	v_add_co_u32 v10, vcc_lo, v116, v37
	v_add_co_ci_u32_e64 v11, null, v117, v38, vcc_lo
	v_add_co_u32 v12, vcc_lo, v116, v48
	v_add_co_ci_u32_e64 v13, null, v117, v49, vcc_lo
	;; [unrolled: 2-line block ×3, first 2 shown]
.LBB12_230:                             ;   Parent Loop BB12_77 Depth=1
                                        ; =>  This Inner Loop Header: Depth=2
	v_add_co_u32 v116, vcc_lo, 0xfffffc20, v48
	v_add_co_ci_u32_e64 v117, null, -1, v49, vcc_lo
	v_sub_nc_u32_e32 v113, v113, v55
	flat_load_ubyte v116, v[116:117] slc
	v_add_co_u32 v117, vcc_lo, 0xfffffc40, v48
	v_add_co_ci_u32_e64 v118, null, -1, v49, vcc_lo
	flat_load_ubyte v117, v[117:118] slc
	v_add_co_u32 v118, vcc_lo, 0xfffffc60, v48
	v_add_co_ci_u32_e64 v119, null, -1, v49, vcc_lo
	v_add_co_u32 v40, vcc_lo, 0xfffffc80, v48
	v_add_co_ci_u32_e64 v41, null, -1, v49, vcc_lo
	flat_load_ubyte v118, v[118:119] slc
	flat_load_ubyte v119, v[40:41] slc
	v_add_co_u32 v40, vcc_lo, 0xfffffca0, v48
	v_add_co_ci_u32_e64 v41, null, -1, v49, vcc_lo
	flat_load_ubyte v40, v[40:41] slc
	v_add_co_u32 v41, vcc_lo, 0xfffffcc0, v48
	v_add_co_ci_u32_e64 v42, null, -1, v49, vcc_lo
	;; [unrolled: 3-line block ×7, first 2 shown]
	v_add_co_u32 v56, vcc_lo, 0xfffffd80, v48
	v_add_co_ci_u32_e64 v57, null, -1, v49, vcc_lo
	flat_load_ubyte v46, v[46:47] slc
	flat_load_ubyte v47, v[56:57] slc
	v_add_co_u32 v56, vcc_lo, 0xfffffda0, v48
	v_add_co_ci_u32_e64 v57, null, -1, v49, vcc_lo
	flat_load_ubyte v56, v[56:57] slc
	v_add_co_u32 v57, vcc_lo, 0xfffffdc0, v48
	v_add_co_ci_u32_e64 v58, null, -1, v49, vcc_lo
	;; [unrolled: 3-line block ×19, first 2 shown]
	flat_load_ubyte v62, v[62:63] slc
	flat_load_ubyte v63, v[48:49] slc
	s_waitcnt vmcnt(31) lgkmcnt(31)
	flat_store_byte v[10:11], v116 glc slc
	s_waitcnt vmcnt(30) lgkmcnt(31)
	flat_store_byte v[10:11], v117 offset:32 glc slc
	s_waitcnt vmcnt(29) lgkmcnt(31)
	flat_store_byte v[10:11], v118 offset:64 glc slc
	;; [unrolled: 2-line block ×31, first 2 shown]
	flat_store_byte v[12:13], v116 glc slc
	flat_store_byte v[12:13], v117 offset:32 glc slc
	flat_store_byte v[12:13], v118 offset:64 glc slc
	;; [unrolled: 1-line block ×31, first 2 shown]
	v_add_co_u32 v10, vcc_lo, v10, v70
	v_add_co_ci_u32_e64 v11, null, 0, v11, vcc_lo
	v_add_co_u32 v12, vcc_lo, v12, v70
	v_add_co_ci_u32_e64 v13, null, 0, v13, vcc_lo
	;; [unrolled: 2-line block ×3, first 2 shown]
	v_cmp_gt_i32_e32 vcc_lo, 1, v113
	s_or_b32 s20, vcc_lo, s20
	s_andn2_b32 exec_lo, exec_lo, s20
	s_cbranch_execnz .LBB12_230
; %bb.231:                              ;   in Loop: Header=BB12_77 Depth=1
	s_or_b32 exec_lo, exec_lo, s20
.LBB12_232:                             ;   in Loop: Header=BB12_77 Depth=1
	s_or_b32 exec_lo, exec_lo, s19
	v_lshlrev_b32_e32 v10, 10, v115
	v_cmp_ne_u32_e32 vcc_lo, v51, v10
	s_and_b32 exec_lo, exec_lo, vcc_lo
	s_cbranch_execz .LBB12_238
; %bb.233:                              ;   in Loop: Header=BB12_77 Depth=1
	v_lshrrev_b32_e32 v11, 27, v114
	v_lshlrev_b32_e32 v12, 5, v113
	v_add_nc_u32_e32 v11, v112, v11
	v_and_b32_e32 v11, 0xffffffe0, v11
	v_sub_nc_u32_e32 v11, v112, v11
	v_sub_nc_u32_e32 v11, v11, v12
	v_add_nc_u32_e32 v10, v10, v11
	v_sub_nc_u32_e32 v12, v51, v10
	v_cmp_lt_i32_e32 vcc_lo, 0, v12
	s_and_b32 exec_lo, exec_lo, vcc_lo
	s_cbranch_execz .LBB12_238
; %bb.234:                              ;   in Loop: Header=BB12_77 Depth=1
	s_trap 2
	ds_read_b64 v[48:49], v0
	ds_read_b128 v[112:115], v0
	v_add_nc_u32_e32 v50, v10, v50
	s_mov_b32 s46, 0
	v_ashrrev_i32_e32 v51, 31, v50
	s_waitcnt lgkmcnt(1)
	v_add_co_u32 v10, vcc_lo, v48, v50
	v_add_co_ci_u32_e64 v11, null, v49, v51, vcc_lo
	s_waitcnt lgkmcnt(0)
	v_add_co_u32 v13, vcc_lo, v112, v50
	v_add_co_ci_u32_e64 v48, null, v113, v51, vcc_lo
	v_add_co_u32 v49, vcc_lo, v114, v50
	v_add_co_ci_u32_e64 v50, null, v115, v51, vcc_lo
	s_inst_prefetch 0x1
	.p2align	6
.LBB12_235:                             ;   Parent Loop BB12_77 Depth=1
                                        ; =>  This Loop Header: Depth=2
                                        ;       Child Loop BB12_236 Depth 3
	flat_load_ubyte v51, v[10:11] slc
	s_mov_b64 s[22:23], 0
	s_mov_b32 s47, -1
	.p2align	6
.LBB12_236:                             ;   Parent Loop BB12_77 Depth=1
                                        ;     Parent Loop BB12_235 Depth=2
                                        ; =>    This Inner Loop Header: Depth=3
	s_cmp_eq_u32 s22, 1
	s_cselect_b32 vcc_lo, -1, 0
	s_cmp_eq_u32 s22, 0
	v_cndmask_b32_e32 v112, v13, v49, vcc_lo
	v_cndmask_b32_e32 v113, v48, v50, vcc_lo
	s_mov_b64 s[22:23], 1
	v_add_co_u32 v114, s19, v112, 32
	v_add_co_ci_u32_e64 v115, null, 0, v113, s19
	s_cselect_b32 s19, -1, 0
	v_cndmask_b32_e32 v49, v49, v114, vcc_lo
	v_cndmask_b32_e64 v13, v13, v114, s19
	v_cndmask_b32_e32 v50, v50, v115, vcc_lo
	v_cndmask_b32_e64 v48, v48, v115, s19
	s_and_b32 s20, exec_lo, s47
	s_mov_b32 s47, 0
	s_mov_b32 vcc_lo, s20
	s_waitcnt vmcnt(0) lgkmcnt(0)
	flat_store_byte v[112:113], v51 glc slc
	s_cbranch_vccnz .LBB12_236
; %bb.237:                              ;   in Loop: Header=BB12_235 Depth=2
	v_sub_nc_u32_e32 v12, v12, v64
	v_add_co_u32 v13, vcc_lo, v13, v71
	v_add_co_ci_u32_e64 v48, null, v48, v83, vcc_lo
	v_add_co_u32 v49, vcc_lo, v49, v71
	v_add_co_ci_u32_e64 v50, null, v50, v83, vcc_lo
	v_cmp_gt_i32_e32 vcc_lo, 1, v12
	v_add_co_u32 v10, s19, v86, v10
	v_add_co_ci_u32_e64 v11, null, v87, v11, s19
	s_or_b32 s46, vcc_lo, s46
	s_andn2_b32 exec_lo, exec_lo, s46
	s_cbranch_execnz .LBB12_235
.LBB12_238:                             ;   in Loop: Header=BB12_77 Depth=1
	s_inst_prefetch 0x2
	s_or_b32 exec_lo, exec_lo, s21
	s_mov_b32 s19, 0
.LBB12_239:                             ;   in Loop: Header=BB12_77 Depth=1
	s_and_b32 vcc_lo, exec_lo, s19
	s_cbranch_vccz .LBB12_268
; %bb.240:                              ;   in Loop: Header=BB12_77 Depth=1
	s_mov_b32 s19, -1
	s_and_saveexec_b32 s20, s13
	s_cbranch_execz .LBB12_242
; %bb.241:                              ;   in Loop: Header=BB12_77 Depth=1
	ds_read_b32 v10, v0 offset:720
	s_waitcnt lgkmcnt(0)
	v_and_b32_e32 v10, 15, v10
	v_cmp_eq_u32_e32 vcc_lo, 0, v10
	s_orn2_b32 s19, vcc_lo, exec_lo
.LBB12_242:                             ;   in Loop: Header=BB12_77 Depth=1
	s_or_b32 exec_lo, exec_lo, s20
	s_and_saveexec_b32 s20, s16
	s_cbranch_execz .LBB12_244
; %bb.243:                              ;   in Loop: Header=BB12_77 Depth=1
	ds_read_b32 v10, v0 offset:784
	s_waitcnt lgkmcnt(0)
	v_and_b32_e32 v10, 15, v10
	v_cmp_eq_u32_e32 vcc_lo, 0, v10
	s_and_b32 s21, s19, vcc_lo
	s_andn2_b32 s19, s19, exec_lo
	s_and_b32 s21, s21, exec_lo
	s_or_b32 s19, s19, s21
.LBB12_244:                             ;   in Loop: Header=BB12_77 Depth=1
	s_or_b32 exec_lo, exec_lo, s20
	s_xor_b32 s19, s19, -1
	v_mov_b32_e32 v10, 0
	v_cndmask_b32_e64 v11, 0, 1, s19
	v_mov_b32_e32 v12, v0
	v_mov_b32_e32 v112, v82
	s_mov_b32 s19, -1
	v_cmp_ne_u32_e32 vcc_lo, 0, v11
	v_mov_b32_e32 v11, v103
	s_cbranch_vccnz .LBB12_258
; %bb.245:                              ;   in Loop: Header=BB12_77 Depth=1
	v_ashrrev_i32_e32 v10, 31, v103
	s_mov_b32 s20, exec_lo
	v_lshrrev_b32_e32 v10, 20, v10
	v_add_nc_u32_e32 v10, v103, v10
	v_ashrrev_i32_e32 v49, 12, v10
	v_sub_nc_u32_e32 v48, v49, v82
	v_cmpx_lt_i32_e32 0, v48
	s_cbranch_execz .LBB12_249
; %bb.246:                              ;   in Loop: Header=BB12_77 Depth=1
	v_mov_b32_e32 v10, v37
	v_mov_b32_e32 v13, v3
	;; [unrolled: 1-line block ×4, first 2 shown]
	s_mov_b32 s21, 0
.LBB12_247:                             ;   Parent Loop BB12_77 Depth=1
                                        ; =>  This Inner Loop Header: Depth=2
	v_add_co_u32 v50, vcc_lo, v99, v12
	v_add_co_ci_u32_e64 v51, null, v101, v13, vcc_lo
	v_sub_nc_u32_e32 v48, v48, v55
	v_add_co_u32 v76, vcc_lo, 0x800, v50
	v_add_co_ci_u32_e64 v77, null, 0, v51, vcc_lo
	s_clause 0x3
	global_load_dwordx4 v[112:115], v[50:51], off slc
	global_load_dwordx4 v[116:119], v[50:51], off offset:512 slc
	global_load_dwordx4 v[40:43], v[50:51], off offset:1024 slc
	;; [unrolled: 1-line block ×3, first 2 shown]
	s_clause 0x3
	global_load_dwordx4 v[56:59], v[76:77], off slc
	global_load_dwordx4 v[60:63], v[76:77], off offset:512 slc
	global_load_dwordx4 v[72:75], v[76:77], off offset:1024 slc
	;; [unrolled: 1-line block ×3, first 2 shown]
	v_add_co_u32 v50, vcc_lo, v99, v10
	v_add_co_ci_u32_e64 v51, null, v101, v11, vcc_lo
	v_add_co_u32 v12, vcc_lo, v12, v80
	v_add_co_ci_u32_e64 v13, null, 0, v13, vcc_lo
	;; [unrolled: 2-line block ×3, first 2 shown]
	v_cmp_gt_i32_e32 vcc_lo, 1, v48
	v_add_co_u32 v88, s19, 0x800, v50
	v_add_co_ci_u32_e64 v89, null, 0, v51, s19
	s_or_b32 s21, vcc_lo, s21
	s_waitcnt vmcnt(7)
	global_store_dwordx4 v[50:51], v[112:115], off glc slc
	s_waitcnt vmcnt(6)
	global_store_dwordx4 v[50:51], v[116:119], off offset:512 glc slc
	s_waitcnt vmcnt(5)
	global_store_dwordx4 v[50:51], v[40:43], off offset:1024 glc slc
	;; [unrolled: 2-line block ×3, first 2 shown]
	s_waitcnt vmcnt(3)
	global_store_dwordx4 v[88:89], v[56:59], off glc slc
	s_waitcnt vmcnt(2)
	global_store_dwordx4 v[88:89], v[60:63], off offset:512 glc slc
	s_waitcnt vmcnt(1)
	global_store_dwordx4 v[88:89], v[72:75], off offset:1024 glc slc
	;; [unrolled: 2-line block ×3, first 2 shown]
	s_andn2_b32 exec_lo, exec_lo, s21
	s_cbranch_execnz .LBB12_247
; %bb.248:                              ;   in Loop: Header=BB12_77 Depth=1
	s_or_b32 exec_lo, exec_lo, s21
.LBB12_249:                             ;   in Loop: Header=BB12_77 Depth=1
	s_or_b32 exec_lo, exec_lo, s20
	v_lshlrev_b32_e32 v13, 12, v49
	v_mov_b32_e32 v10, 0
	s_mov_b32 s19, 0
	s_mov_b32 s21, exec_lo
                                        ; implicit-def: $vgpr11
                                        ; implicit-def: $vgpr12
                                        ; implicit-def: $vgpr112
	v_cmpx_ne_u32_e64 v103, v13
	s_cbranch_execz .LBB12_257
; %bb.250:                              ;   in Loop: Header=BB12_77 Depth=1
	v_lshlrev_b32_e32 v10, 5, v48
	v_sub_nc_u32_e32 v12, v103, v13
	s_mov_b32 s22, exec_lo
	v_sub_nc_u32_e32 v10, v85, v10
	v_ashrrev_i32_e32 v48, 31, v12
	v_ashrrev_i32_e32 v11, 31, v10
	v_lshrrev_b32_e32 v48, 23, v48
	v_lshrrev_b32_e32 v11, 27, v11
	v_add_nc_u32_e32 v51, v12, v48
	v_add_nc_u32_e32 v11, v10, v11
	v_and_b32_e32 v48, 0xfffffe00, v51
	v_ashrrev_i32_e32 v51, 9, v51
	v_and_b32_e32 v49, 0xffffffe0, v11
	v_sub_nc_u32_e32 v50, v12, v48
	v_ashrrev_i32_e32 v112, 5, v11
	v_sub_nc_u32_e32 v49, v10, v49
	v_cmp_lt_i32_e32 vcc_lo, 15, v50
	v_lshlrev_b32_e32 v10, 4, v49
	v_add_co_ci_u32_e64 v51, null, 0, v51, vcc_lo
	v_lshl_add_u32 v11, v112, 9, v10
	v_sub_nc_u32_e32 v51, v51, v112
	v_sub_nc_u32_e32 v10, v12, v11
	v_cmpx_lt_i32_e32 15, v10
	s_cbranch_execz .LBB12_254
; %bb.251:                              ;   in Loop: Header=BB12_77 Depth=1
	v_add_nc_u32_e32 v11, v11, v13
	s_mov_b32 s23, 0
	v_ashrrev_i32_e32 v12, 31, v11
	.p2align	6
.LBB12_252:                             ;   Parent Loop BB12_77 Depth=1
                                        ; =>  This Inner Loop Header: Depth=2
	v_add_co_u32 v112, s19, v2, v11
	v_add_co_ci_u32_e64 v113, null, v3, v12, s19
	v_sub_nc_u32_e32 v10, v10, v69
	v_add_co_u32 v116, s19, v37, v11
	global_load_dwordx4 v[112:115], v[112:113], off slc
	v_add_co_ci_u32_e64 v117, null, v38, v12, s19
	v_cmp_gt_i32_e64 s19, 16, v10
	v_add_co_u32 v11, s20, v11, v97
	v_sub_nc_u32_e32 v51, v51, v55
	v_add_co_ci_u32_e64 v12, null, v12, v98, s20
	s_or_b32 s23, s19, s23
	s_waitcnt vmcnt(0)
	global_store_dwordx4 v[116:117], v[112:115], off glc slc
	s_andn2_b32 exec_lo, exec_lo, s23
	s_cbranch_execnz .LBB12_252
; %bb.253:                              ;   in Loop: Header=BB12_77 Depth=1
	s_or_b32 exec_lo, exec_lo, s23
.LBB12_254:                             ;   in Loop: Header=BB12_77 Depth=1
	s_or_b32 exec_lo, exec_lo, s22
	v_and_b32_e32 v113, 15, v103
	v_mov_b32_e32 v10, 0
	s_mov_b32 s20, 0
	s_mov_b32 s22, exec_lo
                                        ; implicit-def: $vgpr12
                                        ; implicit-def: $vgpr112
	v_cndmask_b32_e32 v11, v50, v113, vcc_lo
	v_cmpx_ne_u32_e32 0, v11
	s_cbranch_execz .LBB12_256
; %bb.255:                              ;   in Loop: Header=BB12_77 Depth=1
	v_cmp_lt_i32_e64 s19, 0, v51
	s_mov_b32 s20, exec_lo
	v_cndmask_b32_e64 v10, 0, v55, s19
	v_sub_nc_u32_e32 v10, v10, v51
	v_lshl_add_u32 v12, v10, 5, v49
	v_sub_nc_u32_e32 v49, v50, v113
	v_ashrrev_i32_e32 v10, 31, v12
	v_cndmask_b32_e32 v49, 0, v49, vcc_lo
	v_lshrrev_b32_e32 v10, 27, v10
	v_add_nc_u32_e32 v50, v12, v10
	v_add3_u32 v10, v48, v13, v49
	v_ashrrev_i32_e32 v112, 5, v50
.LBB12_256:                             ;   in Loop: Header=BB12_77 Depth=1
	s_or_b32 exec_lo, exec_lo, s22
	s_and_b32 s19, s20, exec_lo
.LBB12_257:                             ;   in Loop: Header=BB12_77 Depth=1
	s_or_b32 exec_lo, exec_lo, s21
.LBB12_258:                             ;   in Loop: Header=BB12_77 Depth=1
	s_and_saveexec_b32 s20, s19
	s_cbranch_execz .LBB12_267
; %bb.259:                              ;   in Loop: Header=BB12_77 Depth=1
	v_ashrrev_i32_e32 v13, 31, v11
	s_mov_b32 s19, exec_lo
	v_lshrrev_b32_e32 v13, 22, v13
	v_add_nc_u32_e32 v13, v11, v13
	v_ashrrev_i32_e32 v48, 10, v13
	v_sub_nc_u32_e32 v13, v48, v112
	v_cmpx_lt_i32_e32 0, v13
	s_cbranch_execz .LBB12_263
; %bb.260:                              ;   in Loop: Header=BB12_77 Depth=1
	v_ashrrev_i32_e32 v49, 31, v12
	v_lshlrev_b32_e32 v50, 10, v112
	s_mov_b32 s21, 0
	v_lshrrev_b32_e32 v49, 27, v49
	v_add_nc_u32_e32 v49, v12, v49
	v_and_b32_e32 v49, 0xffffffe0, v49
	v_sub_nc_u32_e32 v49, v12, v49
	v_add3_u32 v49, v10, v49, v50
	v_ashrrev_i32_e32 v50, 31, v49
.LBB12_261:                             ;   Parent Loop BB12_77 Depth=1
                                        ; =>  This Inner Loop Header: Depth=2
	v_add_co_u32 v112, vcc_lo, v49, v2
	v_add_co_ci_u32_e64 v113, null, v50, v3, vcc_lo
	v_sub_nc_u32_e32 v13, v13, v55
	s_clause 0x1f
	flat_load_ubyte v51, v[112:113] slc
	flat_load_ubyte v114, v[112:113] offset:32 slc
	flat_load_ubyte v115, v[112:113] offset:64 slc
	;; [unrolled: 1-line block ×31, first 2 shown]
	v_add_co_u32 v112, vcc_lo, v49, v37
	v_add_co_ci_u32_e64 v113, null, v50, v38, vcc_lo
	v_add_co_u32 v2, vcc_lo, v2, v70
	v_add_co_ci_u32_e64 v3, null, 0, v3, vcc_lo
	;; [unrolled: 2-line block ×3, first 2 shown]
	v_cmp_gt_i32_e32 vcc_lo, 1, v13
	s_waitcnt vmcnt(31) lgkmcnt(31)
	flat_store_byte v[112:113], v51 glc slc
	s_waitcnt vmcnt(30) lgkmcnt(31)
	flat_store_byte v[112:113], v114 offset:32 glc slc
	s_waitcnt vmcnt(29) lgkmcnt(31)
	flat_store_byte v[112:113], v115 offset:64 glc slc
	;; [unrolled: 2-line block ×31, first 2 shown]
	s_or_b32 s21, vcc_lo, s21
	s_andn2_b32 exec_lo, exec_lo, s21
	s_cbranch_execnz .LBB12_261
; %bb.262:                              ;   in Loop: Header=BB12_77 Depth=1
	s_or_b32 exec_lo, exec_lo, s21
.LBB12_263:                             ;   in Loop: Header=BB12_77 Depth=1
	s_or_b32 exec_lo, exec_lo, s19
	v_lshlrev_b32_e32 v2, 10, v48
	v_cmp_ne_u32_e32 vcc_lo, v11, v2
	s_and_b32 exec_lo, exec_lo, vcc_lo
	s_cbranch_execz .LBB12_267
; %bb.264:                              ;   in Loop: Header=BB12_77 Depth=1
	v_ashrrev_i32_e32 v3, 31, v12
	v_lshrrev_b32_e32 v3, 27, v3
	v_add_nc_u32_e32 v3, v12, v3
	v_and_b32_e32 v3, 0xffffffe0, v3
	v_sub_nc_u32_e32 v3, v12, v3
	v_lshlrev_b32_e32 v12, 5, v13
	v_sub_nc_u32_e32 v3, v3, v12
	v_add_nc_u32_e32 v12, v2, v3
	v_sub_nc_u32_e32 v11, v11, v12
	v_cmp_lt_i32_e32 vcc_lo, 0, v11
	s_and_b32 exec_lo, exec_lo, vcc_lo
	s_cbranch_execz .LBB12_267
; %bb.265:                              ;   in Loop: Header=BB12_77 Depth=1
	s_trap 2
	ds_read_b64 v[2:3], v0
	v_add_nc_u32_e32 v10, v12, v10
	s_mov_b32 s21, 0
	v_ashrrev_i32_e32 v12, 31, v10
	.p2align	6
.LBB12_266:                             ;   Parent Loop BB12_77 Depth=1
                                        ; =>  This Inner Loop Header: Depth=2
	s_waitcnt lgkmcnt(0)
	v_add_co_u32 v37, vcc_lo, v2, v10
	v_add_co_ci_u32_e64 v38, null, v3, v12, vcc_lo
	v_sub_nc_u32_e32 v11, v11, v64
	v_add_co_u32 v10, s19, v10, v86
	flat_load_ubyte v13, v[37:38] slc
	v_add_co_ci_u32_e64 v12, null, v12, v87, s19
	v_cmp_gt_i32_e32 vcc_lo, 1, v11
	s_or_b32 s21, vcc_lo, s21
	s_waitcnt vmcnt(0) lgkmcnt(0)
	flat_store_byte v[37:38], v13 glc slc
	s_andn2_b32 exec_lo, exec_lo, s21
	s_cbranch_execnz .LBB12_266
.LBB12_267:                             ;   in Loop: Header=BB12_77 Depth=1
	s_or_b32 exec_lo, exec_lo, s20
.LBB12_268:                             ;   in Loop: Header=BB12_77 Depth=1
	v_cmp_lt_i32_e64 s19, 0, v103
	s_and_saveexec_b32 s20, s7
	s_cbranch_execnz .LBB12_274
.LBB12_269:                             ;   in Loop: Header=BB12_77 Depth=1
	s_or_b32 exec_lo, exec_lo, s20
                                        ; implicit-def: $vgpr2
	s_and_saveexec_b32 s20, s15
	s_xor_b32 s20, exec_lo, s20
	s_cbranch_execz .LBB12_380
.LBB12_270:                             ;   in Loop: Header=BB12_77 Depth=1
	v_and_b32_e32 v2, 16, v52
	v_cmp_ne_u32_e32 vcc_lo, 0, v2
	v_and_b32_e32 v2, 16, v52
	s_and_b32 s21, vcc_lo, s19
	s_and_saveexec_b32 s19, s21
	s_cbranch_execz .LBB12_272
; %bb.271:                              ;   in Loop: Header=BB12_77 Depth=1
	v_mov_b32_e32 v2, 1
	s_waitcnt vmcnt(0) lgkmcnt(0)
	s_waitcnt_vscnt null, 0x0
	buffer_gl1_inv
	buffer_gl0_inv
.LBB12_272:                             ;   in Loop: Header=BB12_77 Depth=1
	s_or_b32 exec_lo, exec_lo, s19
	s_andn2_saveexec_b32 s19, s20
	s_cbranch_execz .LBB12_418
	s_branch .LBB12_381
.LBB12_273:                             ;   in Loop: Header=BB12_77 Depth=1
	s_mov_b32 s19, 0
	s_and_saveexec_b32 s20, s7
	s_cbranch_execz .LBB12_269
.LBB12_274:                             ;   in Loop: Header=BB12_77 Depth=1
	s_and_saveexec_b32 s21, s27
	s_xor_b32 s21, exec_lo, s21
	s_cbranch_execz .LBB12_377
; %bb.275:                              ;   in Loop: Header=BB12_77 Depth=1
	s_and_saveexec_b32 s22, s12
	s_cbranch_execz .LBB12_376
; %bb.276:                              ;   in Loop: Header=BB12_77 Depth=1
	s_mov_b32 s46, exec_lo
	s_mov_b32 s23, exec_lo
	v_mbcnt_lo_u32_b32 v2, s46, 0
	s_waitcnt vmcnt(0) lgkmcnt(0)
	s_waitcnt_vscnt null, 0x0
	buffer_gl1_inv
	buffer_gl0_inv
	v_cmpx_eq_u32_e32 0, v2
	s_cbranch_execz .LBB12_278
; %bb.277:                              ;   in Loop: Header=BB12_77 Depth=1
	s_bcnt1_i32_b32 s46, s46
	v_mov_b32_e32 v3, v1
	v_mov_b32_e32 v2, s46
	ds_add_u64 v0, v[2:3]
	s_trap 2
.LBB12_278:                             ;   in Loop: Header=BB12_77 Depth=1
	s_or_b32 exec_lo, exec_lo, s23
	s_trap 2
	ds_read_b64 v[2:3], v0
	s_waitcnt lgkmcnt(0)
	buffer_gl0_inv
	v_add_co_u32 v24, vcc_lo, v24, v55
	v_add_co_ci_u32_e64 v25, null, 0, v25, vcc_lo
	s_mov_b32 s23, exec_lo
	v_cmpx_lt_u64_e64 v[2:3], v[24:25]
	s_cbranch_execz .LBB12_375
; %bb.279:                              ;   in Loop: Header=BB12_77 Depth=1
	s_mov_b32 s46, 0
	s_mov_b32 s57, 0
                                        ; implicit-def: $sgpr47
                                        ; implicit-def: $sgpr56
	s_inst_prefetch 0x1
	s_branch .LBB12_281
	.p2align	6
.LBB12_280:                             ;   in Loop: Header=BB12_281 Depth=2
	s_or_b32 exec_lo, exec_lo, s59
	s_and_b32 s58, exec_lo, s60
	s_or_b32 s46, s58, s46
	s_andn2_b32 s47, s47, exec_lo
	s_and_b32 s58, s56, exec_lo
	s_or_b32 s47, s47, s58
	s_andn2_b32 exec_lo, exec_lo, s46
	s_cbranch_execz .LBB12_373
.LBB12_281:                             ;   Parent Loop BB12_77 Depth=1
                                        ; =>  This Inner Loop Header: Depth=2
	s_add_i32 s57, s57, 1
	s_cmpk_lg_i32 s57, 0x2710
	s_cselect_b32 s58, -1, 0
	s_and_b32 vcc_lo, exec_lo, s58
	s_cbranch_vccz .LBB12_283
; %bb.282:                              ;   in Loop: Header=BB12_281 Depth=2
	s_mov_b32 s60, -1
	s_or_b32 s56, s56, exec_lo
	s_and_saveexec_b32 s59, s58
	s_cbranch_execz .LBB12_280
	s_branch .LBB12_284
	.p2align	6
.LBB12_283:                             ;   in Loop: Header=BB12_281 Depth=2
	s_trap 2
	ds_read_b64 v[2:3], v0
	s_andn2_b32 s58, s58, exec_lo
	s_mov_b32 s57, 0
	s_waitcnt lgkmcnt(0)
	flat_load_dword v2, v[2:3] glc dlc
	s_waitcnt vmcnt(0) lgkmcnt(0)
	buffer_gl1_inv
	buffer_gl0_inv
	v_cmp_eq_u32_e32 vcc_lo, 0, v2
	s_and_b32 s59, vcc_lo, exec_lo
	s_or_b32 s58, s58, s59
	s_mov_b32 s60, -1
	s_or_b32 s56, s56, exec_lo
	s_and_saveexec_b32 s59, s58
	s_cbranch_execz .LBB12_280
.LBB12_284:                             ;   in Loop: Header=BB12_281 Depth=2
	s_sleep 1
	s_trap 2
	ds_read_b64 v[2:3], v0
	s_waitcnt lgkmcnt(0)
	buffer_gl0_inv
	s_andn2_b32 s56, s56, exec_lo
	v_cmp_ge_u64_e32 vcc_lo, v[2:3], v[24:25]
	s_orn2_b32 s60, vcc_lo, exec_lo
	s_branch .LBB12_280
.LBB12_285:                             ;   in Loop: Header=BB12_77 Depth=1
	s_inst_prefetch 0x2
	s_or_b32 exec_lo, exec_lo, s23
	s_and_saveexec_b32 s23, s47
	s_xor_b32 s23, exec_lo, s23
	s_cbranch_execz .LBB12_287
; %bb.286:                              ;   in Loop: Header=BB12_77 Depth=1
	ds_write_b32 v0, v66
	s_trap 2
.LBB12_287:                             ;   in Loop: Header=BB12_77 Depth=1
	s_or_b32 exec_lo, exec_lo, s22
	;;#ASMSTART
	s_wakeup
	;;#ASMEND
.LBB12_288:                             ;   in Loop: Header=BB12_77 Depth=1
	s_or_b32 exec_lo, exec_lo, s21
.LBB12_289:                             ;   in Loop: Header=BB12_77 Depth=1
	s_andn2_saveexec_b32 s20, s20
	s_cbranch_execz .LBB12_291
; %bb.290:                              ;   in Loop: Header=BB12_77 Depth=1
	s_waitcnt vmcnt(0) lgkmcnt(0)
	s_waitcnt_vscnt null, 0x0
	buffer_gl1_inv
	buffer_gl0_inv
	s_barrier
.LBB12_291:                             ;   in Loop: Header=BB12_77 Depth=1
	s_or_b32 exec_lo, exec_lo, s20
.LBB12_292:                             ;   in Loop: Header=BB12_77 Depth=1
	s_or_b32 exec_lo, exec_lo, s19
	s_trap 2
	ds_read_b64 v[2:3], v0
	s_waitcnt lgkmcnt(0)
	v_cmp_eq_u64_e32 vcc_lo, 0, v[2:3]
	s_cbranch_vccnz .LBB12_361
; %bb.293:                              ;   in Loop: Header=BB12_77 Depth=1
	s_trap 2
	ds_read_b64 v[37:38], v0
	s_waitcnt lgkmcnt(0)
	v_cmp_eq_u64_e32 vcc_lo, 0, v[37:38]
	s_cbranch_vccnz .LBB12_361
; %bb.294:                              ;   in Loop: Header=BB12_77 Depth=1
	s_trap 2
	ds_read_b64 v[48:49], v0
	v_cmp_eq_u32_e64 s19, 0, v10
	v_cndmask_b32_e64 v103, 0, v36, s19
	s_mov_b32 s19, -1
	s_waitcnt lgkmcnt(0)
	v_cmp_ne_u64_e32 vcc_lo, 0, v[48:49]
	s_cbranch_vccz .LBB12_327
; %bb.295:                              ;   in Loop: Header=BB12_77 Depth=1
	s_and_saveexec_b32 s20, s16
	s_cbranch_execz .LBB12_297
; %bb.296:                              ;   in Loop: Header=BB12_77 Depth=1
	ds_read_b32 v10, v0 offset:720
	s_waitcnt lgkmcnt(0)
	v_and_b32_e32 v10, 15, v10
	v_cmp_eq_u32_e32 vcc_lo, 0, v10
	s_orn2_b32 s19, vcc_lo, exec_lo
.LBB12_297:                             ;   in Loop: Header=BB12_77 Depth=1
	s_or_b32 exec_lo, exec_lo, s20
	s_and_saveexec_b32 s20, s14
	s_cbranch_execz .LBB12_299
; %bb.298:                              ;   in Loop: Header=BB12_77 Depth=1
	ds_read_b32 v10, v0 offset:784
	s_waitcnt lgkmcnt(0)
	v_and_b32_e32 v10, 15, v10
	v_cmp_eq_u32_e32 vcc_lo, 0, v10
	s_and_b32 s21, s19, vcc_lo
	s_andn2_b32 s19, s19, exec_lo
	s_and_b32 s21, s21, exec_lo
	s_or_b32 s19, s19, s21
.LBB12_299:                             ;   in Loop: Header=BB12_77 Depth=1
	s_or_b32 exec_lo, exec_lo, s20
	s_xor_b32 s19, s19, -1
	v_mov_b32_e32 v50, 0
	v_cndmask_b32_e64 v10, 0, 1, s19
	v_mov_b32_e32 v51, v103
	v_mov_b32_e32 v112, v0
	s_mov_b32 s19, -1
	v_cmp_ne_u32_e32 vcc_lo, 0, v10
	v_mov_b32_e32 v10, v82
	s_cbranch_vccnz .LBB12_315
; %bb.300:                              ;   in Loop: Header=BB12_77 Depth=1
	v_ashrrev_i32_e32 v10, 31, v103
	s_mov_b32 s20, exec_lo
	v_lshrrev_b32_e32 v10, 21, v10
	v_add_nc_u32_e32 v10, v103, v10
	v_ashrrev_i32_e32 v112, 11, v10
	v_sub_nc_u32_e32 v114, v112, v82
	v_cmpx_lt_i32_e32 0, v114
	s_cbranch_execz .LBB12_304
; %bb.301:                              ;   in Loop: Header=BB12_77 Depth=1
	v_add_co_u32 v10, vcc_lo, v2, v96
	v_add_co_ci_u32_e64 v11, null, v3, v100, vcc_lo
	v_add_co_u32 v12, vcc_lo, v37, v96
	v_add_co_ci_u32_e64 v13, null, v38, v100, vcc_lo
	v_add_co_u32 v50, vcc_lo, v48, v96
	v_add_co_ci_u32_e64 v51, null, v49, v100, vcc_lo
	s_mov_b32 s21, 0
	s_inst_prefetch 0x1
	.p2align	6
.LBB12_302:                             ;   Parent Loop BB12_77 Depth=1
                                        ; =>  This Inner Loop Header: Depth=2
	s_clause 0x3
	global_load_dwordx4 v[115:118], v[10:11], off slc
	global_load_dwordx4 v[40:43], v[10:11], off offset:512 slc
	global_load_dwordx4 v[44:47], v[10:11], off offset:1024 slc
	;; [unrolled: 1-line block ×3, first 2 shown]
	v_sub_nc_u32_e32 v114, v114, v55
	v_add_co_u32 v10, vcc_lo, v10, v68
	v_add_co_ci_u32_e64 v11, null, 0, v11, vcc_lo
	v_cmp_gt_i32_e32 vcc_lo, 1, v114
	s_waitcnt vmcnt(3)
	global_store_dwordx4 v[12:13], v[115:118], off glc slc
	s_waitcnt vmcnt(2)
	global_store_dwordx4 v[12:13], v[40:43], off offset:512 glc slc
	s_waitcnt vmcnt(1)
	global_store_dwordx4 v[12:13], v[44:47], off offset:1024 glc slc
	;; [unrolled: 2-line block ×3, first 2 shown]
	global_store_dwordx4 v[50:51], v[115:118], off glc slc
	global_store_dwordx4 v[50:51], v[40:43], off offset:512 glc slc
	global_store_dwordx4 v[50:51], v[44:47], off offset:1024 glc slc
	;; [unrolled: 1-line block ×3, first 2 shown]
	v_add_co_u32 v12, s19, v12, v68
	v_add_co_ci_u32_e64 v13, null, 0, v13, s19
	v_add_co_u32 v50, s19, v50, v68
	v_add_co_ci_u32_e64 v51, null, 0, v51, s19
	s_or_b32 s21, vcc_lo, s21
	s_andn2_b32 exec_lo, exec_lo, s21
	s_cbranch_execnz .LBB12_302
; %bb.303:                              ;   in Loop: Header=BB12_77 Depth=1
	s_inst_prefetch 0x2
	s_or_b32 exec_lo, exec_lo, s21
.LBB12_304:                             ;   in Loop: Header=BB12_77 Depth=1
	s_or_b32 exec_lo, exec_lo, s20
	v_lshlrev_b32_e32 v113, 11, v112
	v_mov_b32_e32 v50, 0
	s_mov_b32 s19, 0
	s_mov_b32 s47, exec_lo
                                        ; implicit-def: $vgpr51
                                        ; implicit-def: $vgpr112
                                        ; implicit-def: $vgpr10
	v_cmpx_ne_u32_e64 v103, v113
	s_cbranch_execz .LBB12_314
; %bb.305:                              ;   in Loop: Header=BB12_77 Depth=1
	v_lshlrev_b32_e32 v10, 5, v114
	v_sub_nc_u32_e32 v12, v103, v113
	s_mov_b32 s56, exec_lo
	v_sub_nc_u32_e32 v10, v85, v10
	v_ashrrev_i32_e32 v13, 31, v12
	v_ashrrev_i32_e32 v11, 31, v10
	v_lshrrev_b32_e32 v13, 23, v13
	v_lshrrev_b32_e32 v11, 27, v11
	v_add_nc_u32_e32 v13, v12, v13
	v_add_nc_u32_e32 v11, v10, v11
	v_and_b32_e32 v114, 0xfffffe00, v13
	v_ashrrev_i32_e32 v13, 9, v13
	v_and_b32_e32 v50, 0xffffffe0, v11
	v_sub_nc_u32_e32 v116, v12, v114
	v_ashrrev_i32_e32 v11, 5, v11
	v_sub_nc_u32_e32 v115, v10, v50
	v_cmp_lt_i32_e64 s19, 15, v116
	v_lshlrev_b32_e32 v10, 4, v115
	v_add_co_ci_u32_e64 v13, null, 0, v13, s19
	v_lshl_add_u32 v10, v11, 9, v10
	v_sub_nc_u32_e32 v117, v13, v11
	v_sub_nc_u32_e32 v112, v12, v10
	v_cmpx_lt_i32_e32 15, v112
	s_cbranch_execz .LBB12_311
; %bb.306:                              ;   in Loop: Header=BB12_77 Depth=1
	v_add_nc_u32_e32 v10, v10, v113
	s_mov_b32 s57, 0
	v_ashrrev_i32_e32 v11, 31, v10
	v_add_co_u32 v50, vcc_lo, v10, v2
	v_add_co_ci_u32_e64 v51, null, v11, v3, vcc_lo
	v_add_co_u32 v118, vcc_lo, v10, v37
	v_add_co_ci_u32_e64 v119, null, v11, v38, vcc_lo
	;; [unrolled: 2-line block ×3, first 2 shown]
	s_inst_prefetch 0x1
	.p2align	6
.LBB12_307:                             ;   Parent Loop BB12_77 Depth=1
                                        ; =>  This Loop Header: Depth=2
                                        ;       Child Loop BB12_308 Depth 3
	global_load_dwordx4 v[10:13], v[50:51], off slc
	s_mov_b64 s[22:23], 0
	s_mov_b32 s58, -1
	.p2align	6
.LBB12_308:                             ;   Parent Loop BB12_77 Depth=1
                                        ;     Parent Loop BB12_307 Depth=2
                                        ; =>    This Inner Loop Header: Depth=3
	s_cmp_eq_u32 s22, 1
	s_cselect_b32 vcc_lo, -1, 0
	s_cmp_eq_u32 s22, 0
	v_cndmask_b32_e32 v42, v118, v40, vcc_lo
	v_cndmask_b32_e32 v43, v119, v41, vcc_lo
	s_mov_b64 s[22:23], 1
	v_add_co_u32 v44, s20, 0x200, v42
	v_add_co_ci_u32_e64 v45, null, 0, v43, s20
	s_cselect_b32 s20, -1, 0
	v_cndmask_b32_e32 v40, v40, v44, vcc_lo
	v_cndmask_b32_e64 v118, v118, v44, s20
	v_cndmask_b32_e32 v41, v41, v45, vcc_lo
	v_cndmask_b32_e64 v119, v119, v45, s20
	s_and_b32 s21, exec_lo, s58
	s_mov_b32 s58, 0
	s_mov_b32 vcc_lo, s21
	s_waitcnt vmcnt(0)
	global_store_dwordx4 v[42:43], v[10:13], off glc slc
	s_cbranch_vccnz .LBB12_308
; %bb.309:                              ;   in Loop: Header=BB12_307 Depth=2
	v_sub_nc_u32_e32 v112, v112, v69
	v_add_co_u32 v118, vcc_lo, v118, v81
	v_add_co_ci_u32_e64 v119, null, v119, v84, vcc_lo
	v_add_co_u32 v40, vcc_lo, v40, v81
	v_add_co_ci_u32_e64 v41, null, v41, v84, vcc_lo
	v_cmp_gt_i32_e32 vcc_lo, 16, v112
	v_add_co_u32 v50, s20, v97, v50
	v_add_co_ci_u32_e64 v51, null, v98, v51, s20
	v_sub_nc_u32_e32 v117, v117, v55
	s_or_b32 s57, vcc_lo, s57
	s_andn2_b32 exec_lo, exec_lo, s57
	s_cbranch_execnz .LBB12_307
; %bb.310:                              ;   in Loop: Header=BB12_77 Depth=1
	s_inst_prefetch 0x2
	s_or_b32 exec_lo, exec_lo, s57
.LBB12_311:                             ;   in Loop: Header=BB12_77 Depth=1
	s_or_b32 exec_lo, exec_lo, s56
	v_and_b32_e32 v11, 15, v103
	v_mov_b32_e32 v50, 0
	s_mov_b32 s20, 0
	s_mov_b32 s21, exec_lo
                                        ; implicit-def: $vgpr112
                                        ; implicit-def: $vgpr10
	v_cndmask_b32_e64 v51, v116, v11, s19
	v_cmpx_ne_u32_e32 0, v51
	s_cbranch_execz .LBB12_313
; %bb.312:                              ;   in Loop: Header=BB12_77 Depth=1
	v_cmp_lt_i32_e32 vcc_lo, 0, v117
	v_sub_nc_u32_e32 v11, v116, v11
	s_mov_b32 s20, exec_lo
	v_cndmask_b32_e32 v10, 0, v55, vcc_lo
	v_cndmask_b32_e64 v11, 0, v11, s19
	v_sub_nc_u32_e32 v10, v10, v117
	v_add3_u32 v50, v114, v113, v11
	v_lshl_add_u32 v112, v10, 5, v115
	v_ashrrev_i32_e32 v10, 31, v112
	v_lshrrev_b32_e32 v10, 27, v10
	v_add_nc_u32_e32 v10, v112, v10
	v_ashrrev_i32_e32 v10, 5, v10
.LBB12_313:                             ;   in Loop: Header=BB12_77 Depth=1
	s_or_b32 exec_lo, exec_lo, s21
	s_and_b32 s19, s20, exec_lo
.LBB12_314:                             ;   in Loop: Header=BB12_77 Depth=1
	s_or_b32 exec_lo, exec_lo, s47
.LBB12_315:                             ;   in Loop: Header=BB12_77 Depth=1
	s_and_saveexec_b32 s21, s19
	s_cbranch_execz .LBB12_326
; %bb.316:                              ;   in Loop: Header=BB12_77 Depth=1
	v_ashrrev_i32_e32 v11, 31, v51
	v_ashrrev_i32_e32 v114, 31, v112
	s_mov_b32 s19, exec_lo
	v_lshrrev_b32_e32 v11, 22, v11
	v_add_nc_u32_e32 v11, v51, v11
	v_ashrrev_i32_e32 v115, 10, v11
	v_sub_nc_u32_e32 v113, v115, v10
	v_cmpx_lt_i32_e32 0, v113
	s_cbranch_execz .LBB12_320
; %bb.317:                              ;   in Loop: Header=BB12_77 Depth=1
	v_lshrrev_b32_e32 v11, 27, v114
	v_lshlrev_b32_e32 v10, 10, v10
	v_add_co_u32 v118, vcc_lo, 0x3e0, v2
	v_add_co_ci_u32_e64 v119, null, 0, v3, vcc_lo
	v_add_nc_u32_e32 v11, v112, v11
	s_mov_b32 s20, 0
	v_and_b32_e32 v11, 0xffffffe0, v11
	v_sub_nc_u32_e32 v11, v112, v11
	v_add3_u32 v116, v50, v11, v10
	v_ashrrev_i32_e32 v117, 31, v116
	v_add_co_u32 v10, vcc_lo, v116, v37
	v_add_co_ci_u32_e64 v11, null, v117, v38, vcc_lo
	v_add_co_u32 v12, vcc_lo, v116, v48
	v_add_co_ci_u32_e64 v13, null, v117, v49, vcc_lo
	;; [unrolled: 2-line block ×3, first 2 shown]
.LBB12_318:                             ;   Parent Loop BB12_77 Depth=1
                                        ; =>  This Inner Loop Header: Depth=2
	v_add_co_u32 v116, vcc_lo, 0xfffffc20, v48
	v_add_co_ci_u32_e64 v117, null, -1, v49, vcc_lo
	v_sub_nc_u32_e32 v113, v113, v55
	flat_load_ubyte v116, v[116:117] slc
	v_add_co_u32 v117, vcc_lo, 0xfffffc40, v48
	v_add_co_ci_u32_e64 v118, null, -1, v49, vcc_lo
	flat_load_ubyte v117, v[117:118] slc
	v_add_co_u32 v118, vcc_lo, 0xfffffc60, v48
	v_add_co_ci_u32_e64 v119, null, -1, v49, vcc_lo
	v_add_co_u32 v40, vcc_lo, 0xfffffc80, v48
	v_add_co_ci_u32_e64 v41, null, -1, v49, vcc_lo
	flat_load_ubyte v118, v[118:119] slc
	flat_load_ubyte v119, v[40:41] slc
	v_add_co_u32 v40, vcc_lo, 0xfffffca0, v48
	v_add_co_ci_u32_e64 v41, null, -1, v49, vcc_lo
	flat_load_ubyte v40, v[40:41] slc
	v_add_co_u32 v41, vcc_lo, 0xfffffcc0, v48
	v_add_co_ci_u32_e64 v42, null, -1, v49, vcc_lo
	;; [unrolled: 3-line block ×7, first 2 shown]
	v_add_co_u32 v56, vcc_lo, 0xfffffd80, v48
	v_add_co_ci_u32_e64 v57, null, -1, v49, vcc_lo
	flat_load_ubyte v46, v[46:47] slc
	flat_load_ubyte v47, v[56:57] slc
	v_add_co_u32 v56, vcc_lo, 0xfffffda0, v48
	v_add_co_ci_u32_e64 v57, null, -1, v49, vcc_lo
	flat_load_ubyte v56, v[56:57] slc
	v_add_co_u32 v57, vcc_lo, 0xfffffdc0, v48
	v_add_co_ci_u32_e64 v58, null, -1, v49, vcc_lo
	;; [unrolled: 3-line block ×19, first 2 shown]
	flat_load_ubyte v62, v[62:63] slc
	flat_load_ubyte v63, v[48:49] slc
	s_waitcnt vmcnt(31) lgkmcnt(31)
	flat_store_byte v[10:11], v116 glc slc
	s_waitcnt vmcnt(30) lgkmcnt(31)
	flat_store_byte v[10:11], v117 offset:32 glc slc
	s_waitcnt vmcnt(29) lgkmcnt(31)
	flat_store_byte v[10:11], v118 offset:64 glc slc
	;; [unrolled: 2-line block ×31, first 2 shown]
	flat_store_byte v[12:13], v116 glc slc
	flat_store_byte v[12:13], v117 offset:32 glc slc
	flat_store_byte v[12:13], v118 offset:64 glc slc
	;; [unrolled: 1-line block ×31, first 2 shown]
	v_add_co_u32 v10, vcc_lo, v10, v70
	v_add_co_ci_u32_e64 v11, null, 0, v11, vcc_lo
	v_add_co_u32 v12, vcc_lo, v12, v70
	v_add_co_ci_u32_e64 v13, null, 0, v13, vcc_lo
	;; [unrolled: 2-line block ×3, first 2 shown]
	v_cmp_gt_i32_e32 vcc_lo, 1, v113
	s_or_b32 s20, vcc_lo, s20
	s_andn2_b32 exec_lo, exec_lo, s20
	s_cbranch_execnz .LBB12_318
; %bb.319:                              ;   in Loop: Header=BB12_77 Depth=1
	s_or_b32 exec_lo, exec_lo, s20
.LBB12_320:                             ;   in Loop: Header=BB12_77 Depth=1
	s_or_b32 exec_lo, exec_lo, s19
	v_lshlrev_b32_e32 v10, 10, v115
	v_cmp_ne_u32_e32 vcc_lo, v51, v10
	s_and_b32 exec_lo, exec_lo, vcc_lo
	s_cbranch_execz .LBB12_326
; %bb.321:                              ;   in Loop: Header=BB12_77 Depth=1
	v_lshrrev_b32_e32 v11, 27, v114
	v_lshlrev_b32_e32 v12, 5, v113
	v_add_nc_u32_e32 v11, v112, v11
	v_and_b32_e32 v11, 0xffffffe0, v11
	v_sub_nc_u32_e32 v11, v112, v11
	v_sub_nc_u32_e32 v11, v11, v12
	v_add_nc_u32_e32 v10, v10, v11
	v_sub_nc_u32_e32 v12, v51, v10
	v_cmp_lt_i32_e32 vcc_lo, 0, v12
	s_and_b32 exec_lo, exec_lo, vcc_lo
	s_cbranch_execz .LBB12_326
; %bb.322:                              ;   in Loop: Header=BB12_77 Depth=1
	s_trap 2
	ds_read_b64 v[48:49], v0
	ds_read_b128 v[112:115], v0
	v_add_nc_u32_e32 v50, v10, v50
	s_mov_b32 s47, 0
	v_ashrrev_i32_e32 v51, 31, v50
	s_waitcnt lgkmcnt(1)
	v_add_co_u32 v10, vcc_lo, v48, v50
	v_add_co_ci_u32_e64 v11, null, v49, v51, vcc_lo
	s_waitcnt lgkmcnt(0)
	v_add_co_u32 v13, vcc_lo, v112, v50
	v_add_co_ci_u32_e64 v48, null, v113, v51, vcc_lo
	v_add_co_u32 v49, vcc_lo, v114, v50
	v_add_co_ci_u32_e64 v50, null, v115, v51, vcc_lo
	s_inst_prefetch 0x1
	.p2align	6
.LBB12_323:                             ;   Parent Loop BB12_77 Depth=1
                                        ; =>  This Loop Header: Depth=2
                                        ;       Child Loop BB12_324 Depth 3
	flat_load_ubyte v51, v[10:11] slc
	s_mov_b64 s[22:23], 0
	s_mov_b32 s56, -1
	.p2align	6
.LBB12_324:                             ;   Parent Loop BB12_77 Depth=1
                                        ;     Parent Loop BB12_323 Depth=2
                                        ; =>    This Inner Loop Header: Depth=3
	s_cmp_eq_u32 s22, 1
	s_cselect_b32 vcc_lo, -1, 0
	s_cmp_eq_u32 s22, 0
	v_cndmask_b32_e32 v112, v13, v49, vcc_lo
	v_cndmask_b32_e32 v113, v48, v50, vcc_lo
	s_mov_b64 s[22:23], 1
	v_add_co_u32 v114, s19, v112, 32
	v_add_co_ci_u32_e64 v115, null, 0, v113, s19
	s_cselect_b32 s19, -1, 0
	v_cndmask_b32_e32 v49, v49, v114, vcc_lo
	v_cndmask_b32_e64 v13, v13, v114, s19
	v_cndmask_b32_e32 v50, v50, v115, vcc_lo
	v_cndmask_b32_e64 v48, v48, v115, s19
	s_and_b32 s20, exec_lo, s56
	s_mov_b32 s56, 0
	s_mov_b32 vcc_lo, s20
	s_waitcnt vmcnt(0) lgkmcnt(0)
	flat_store_byte v[112:113], v51 glc slc
	s_cbranch_vccnz .LBB12_324
; %bb.325:                              ;   in Loop: Header=BB12_323 Depth=2
	v_sub_nc_u32_e32 v12, v12, v64
	v_add_co_u32 v13, vcc_lo, v13, v71
	v_add_co_ci_u32_e64 v48, null, v48, v83, vcc_lo
	v_add_co_u32 v49, vcc_lo, v49, v71
	v_add_co_ci_u32_e64 v50, null, v50, v83, vcc_lo
	v_cmp_gt_i32_e32 vcc_lo, 1, v12
	v_add_co_u32 v10, s19, v86, v10
	v_add_co_ci_u32_e64 v11, null, v87, v11, s19
	s_or_b32 s47, vcc_lo, s47
	s_andn2_b32 exec_lo, exec_lo, s47
	s_cbranch_execnz .LBB12_323
.LBB12_326:                             ;   in Loop: Header=BB12_77 Depth=1
	s_inst_prefetch 0x2
	s_or_b32 exec_lo, exec_lo, s21
	s_mov_b32 s19, 0
.LBB12_327:                             ;   in Loop: Header=BB12_77 Depth=1
	s_and_b32 vcc_lo, exec_lo, s19
	s_cbranch_vccz .LBB12_356
; %bb.328:                              ;   in Loop: Header=BB12_77 Depth=1
	s_mov_b32 s19, -1
	s_and_saveexec_b32 s20, s16
	s_cbranch_execz .LBB12_330
; %bb.329:                              ;   in Loop: Header=BB12_77 Depth=1
	ds_read_b32 v10, v0 offset:720
	s_waitcnt lgkmcnt(0)
	v_and_b32_e32 v10, 15, v10
	v_cmp_eq_u32_e32 vcc_lo, 0, v10
	s_orn2_b32 s19, vcc_lo, exec_lo
.LBB12_330:                             ;   in Loop: Header=BB12_77 Depth=1
	s_or_b32 exec_lo, exec_lo, s20
	s_and_saveexec_b32 s20, s16
	s_cbranch_execz .LBB12_332
; %bb.331:                              ;   in Loop: Header=BB12_77 Depth=1
	ds_read_b32 v10, v0 offset:784
	s_waitcnt lgkmcnt(0)
	v_and_b32_e32 v10, 15, v10
	v_cmp_eq_u32_e32 vcc_lo, 0, v10
	s_and_b32 s21, s19, vcc_lo
	s_andn2_b32 s19, s19, exec_lo
	s_and_b32 s21, s21, exec_lo
	s_or_b32 s19, s19, s21
.LBB12_332:                             ;   in Loop: Header=BB12_77 Depth=1
	s_or_b32 exec_lo, exec_lo, s20
	s_xor_b32 s19, s19, -1
	v_mov_b32_e32 v10, 0
	v_cndmask_b32_e64 v11, 0, 1, s19
	v_mov_b32_e32 v12, v0
	v_mov_b32_e32 v112, v82
	s_mov_b32 s19, -1
	v_cmp_ne_u32_e32 vcc_lo, 0, v11
	v_mov_b32_e32 v11, v103
	s_cbranch_vccnz .LBB12_346
; %bb.333:                              ;   in Loop: Header=BB12_77 Depth=1
	v_ashrrev_i32_e32 v10, 31, v103
	s_mov_b32 s20, exec_lo
	v_lshrrev_b32_e32 v10, 20, v10
	v_add_nc_u32_e32 v10, v103, v10
	v_ashrrev_i32_e32 v49, 12, v10
	v_sub_nc_u32_e32 v48, v49, v82
	v_cmpx_lt_i32_e32 0, v48
	s_cbranch_execz .LBB12_337
; %bb.334:                              ;   in Loop: Header=BB12_77 Depth=1
	v_mov_b32_e32 v10, v37
	v_mov_b32_e32 v13, v3
	v_mov_b32_e32 v11, v38
	v_mov_b32_e32 v12, v2
	s_mov_b32 s21, 0
.LBB12_335:                             ;   Parent Loop BB12_77 Depth=1
                                        ; =>  This Inner Loop Header: Depth=2
	v_add_co_u32 v50, vcc_lo, v99, v12
	v_add_co_ci_u32_e64 v51, null, v101, v13, vcc_lo
	v_sub_nc_u32_e32 v48, v48, v55
	v_add_co_u32 v76, vcc_lo, 0x800, v50
	v_add_co_ci_u32_e64 v77, null, 0, v51, vcc_lo
	s_clause 0x3
	global_load_dwordx4 v[112:115], v[50:51], off slc
	global_load_dwordx4 v[116:119], v[50:51], off offset:512 slc
	global_load_dwordx4 v[40:43], v[50:51], off offset:1024 slc
	global_load_dwordx4 v[44:47], v[50:51], off offset:1536 slc
	s_clause 0x3
	global_load_dwordx4 v[56:59], v[76:77], off slc
	global_load_dwordx4 v[60:63], v[76:77], off offset:512 slc
	global_load_dwordx4 v[72:75], v[76:77], off offset:1024 slc
	;; [unrolled: 1-line block ×3, first 2 shown]
	v_add_co_u32 v50, vcc_lo, v99, v10
	v_add_co_ci_u32_e64 v51, null, v101, v11, vcc_lo
	v_add_co_u32 v12, vcc_lo, v12, v80
	v_add_co_ci_u32_e64 v13, null, 0, v13, vcc_lo
	;; [unrolled: 2-line block ×3, first 2 shown]
	v_cmp_gt_i32_e32 vcc_lo, 1, v48
	v_add_co_u32 v88, s19, 0x800, v50
	v_add_co_ci_u32_e64 v89, null, 0, v51, s19
	s_or_b32 s21, vcc_lo, s21
	s_waitcnt vmcnt(7)
	global_store_dwordx4 v[50:51], v[112:115], off glc slc
	s_waitcnt vmcnt(6)
	global_store_dwordx4 v[50:51], v[116:119], off offset:512 glc slc
	s_waitcnt vmcnt(5)
	global_store_dwordx4 v[50:51], v[40:43], off offset:1024 glc slc
	;; [unrolled: 2-line block ×3, first 2 shown]
	s_waitcnt vmcnt(3)
	global_store_dwordx4 v[88:89], v[56:59], off glc slc
	s_waitcnt vmcnt(2)
	global_store_dwordx4 v[88:89], v[60:63], off offset:512 glc slc
	s_waitcnt vmcnt(1)
	global_store_dwordx4 v[88:89], v[72:75], off offset:1024 glc slc
	s_waitcnt vmcnt(0)
	global_store_dwordx4 v[88:89], v[76:79], off offset:1536 glc slc
	s_andn2_b32 exec_lo, exec_lo, s21
	s_cbranch_execnz .LBB12_335
; %bb.336:                              ;   in Loop: Header=BB12_77 Depth=1
	s_or_b32 exec_lo, exec_lo, s21
.LBB12_337:                             ;   in Loop: Header=BB12_77 Depth=1
	s_or_b32 exec_lo, exec_lo, s20
	v_lshlrev_b32_e32 v13, 12, v49
	v_mov_b32_e32 v10, 0
	s_mov_b32 s19, 0
	s_mov_b32 s21, exec_lo
                                        ; implicit-def: $vgpr11
                                        ; implicit-def: $vgpr12
                                        ; implicit-def: $vgpr112
	v_cmpx_ne_u32_e64 v103, v13
	s_cbranch_execz .LBB12_345
; %bb.338:                              ;   in Loop: Header=BB12_77 Depth=1
	v_lshlrev_b32_e32 v10, 5, v48
	v_sub_nc_u32_e32 v12, v103, v13
	s_mov_b32 s22, exec_lo
	v_sub_nc_u32_e32 v10, v85, v10
	v_ashrrev_i32_e32 v48, 31, v12
	v_ashrrev_i32_e32 v11, 31, v10
	v_lshrrev_b32_e32 v48, 23, v48
	v_lshrrev_b32_e32 v11, 27, v11
	v_add_nc_u32_e32 v51, v12, v48
	v_add_nc_u32_e32 v11, v10, v11
	v_and_b32_e32 v48, 0xfffffe00, v51
	v_ashrrev_i32_e32 v51, 9, v51
	v_and_b32_e32 v49, 0xffffffe0, v11
	v_sub_nc_u32_e32 v50, v12, v48
	v_ashrrev_i32_e32 v112, 5, v11
	v_sub_nc_u32_e32 v49, v10, v49
	v_cmp_lt_i32_e32 vcc_lo, 15, v50
	v_lshlrev_b32_e32 v10, 4, v49
	v_add_co_ci_u32_e64 v51, null, 0, v51, vcc_lo
	v_lshl_add_u32 v11, v112, 9, v10
	v_sub_nc_u32_e32 v51, v51, v112
	v_sub_nc_u32_e32 v10, v12, v11
	v_cmpx_lt_i32_e32 15, v10
	s_cbranch_execz .LBB12_342
; %bb.339:                              ;   in Loop: Header=BB12_77 Depth=1
	v_add_nc_u32_e32 v11, v11, v13
	s_mov_b32 s23, 0
	v_ashrrev_i32_e32 v12, 31, v11
	.p2align	6
.LBB12_340:                             ;   Parent Loop BB12_77 Depth=1
                                        ; =>  This Inner Loop Header: Depth=2
	v_add_co_u32 v112, s19, v2, v11
	v_add_co_ci_u32_e64 v113, null, v3, v12, s19
	v_sub_nc_u32_e32 v10, v10, v69
	v_add_co_u32 v116, s19, v37, v11
	global_load_dwordx4 v[112:115], v[112:113], off slc
	v_add_co_ci_u32_e64 v117, null, v38, v12, s19
	v_cmp_gt_i32_e64 s19, 16, v10
	v_add_co_u32 v11, s20, v11, v97
	v_sub_nc_u32_e32 v51, v51, v55
	v_add_co_ci_u32_e64 v12, null, v12, v98, s20
	s_or_b32 s23, s19, s23
	s_waitcnt vmcnt(0)
	global_store_dwordx4 v[116:117], v[112:115], off glc slc
	s_andn2_b32 exec_lo, exec_lo, s23
	s_cbranch_execnz .LBB12_340
; %bb.341:                              ;   in Loop: Header=BB12_77 Depth=1
	s_or_b32 exec_lo, exec_lo, s23
.LBB12_342:                             ;   in Loop: Header=BB12_77 Depth=1
	s_or_b32 exec_lo, exec_lo, s22
	v_and_b32_e32 v113, 15, v103
	v_mov_b32_e32 v10, 0
	s_mov_b32 s20, 0
	s_mov_b32 s22, exec_lo
                                        ; implicit-def: $vgpr12
                                        ; implicit-def: $vgpr112
	v_cndmask_b32_e32 v11, v50, v113, vcc_lo
	v_cmpx_ne_u32_e32 0, v11
	s_cbranch_execz .LBB12_344
; %bb.343:                              ;   in Loop: Header=BB12_77 Depth=1
	v_cmp_lt_i32_e64 s19, 0, v51
	s_mov_b32 s20, exec_lo
	v_cndmask_b32_e64 v10, 0, v55, s19
	v_sub_nc_u32_e32 v10, v10, v51
	v_lshl_add_u32 v12, v10, 5, v49
	v_sub_nc_u32_e32 v49, v50, v113
	v_ashrrev_i32_e32 v10, 31, v12
	v_cndmask_b32_e32 v49, 0, v49, vcc_lo
	v_lshrrev_b32_e32 v10, 27, v10
	v_add_nc_u32_e32 v50, v12, v10
	v_add3_u32 v10, v48, v13, v49
	v_ashrrev_i32_e32 v112, 5, v50
.LBB12_344:                             ;   in Loop: Header=BB12_77 Depth=1
	s_or_b32 exec_lo, exec_lo, s22
	s_and_b32 s19, s20, exec_lo
.LBB12_345:                             ;   in Loop: Header=BB12_77 Depth=1
	s_or_b32 exec_lo, exec_lo, s21
.LBB12_346:                             ;   in Loop: Header=BB12_77 Depth=1
	s_and_saveexec_b32 s20, s19
	s_cbranch_execz .LBB12_355
; %bb.347:                              ;   in Loop: Header=BB12_77 Depth=1
	v_ashrrev_i32_e32 v13, 31, v11
	s_mov_b32 s19, exec_lo
	v_lshrrev_b32_e32 v13, 22, v13
	v_add_nc_u32_e32 v13, v11, v13
	v_ashrrev_i32_e32 v48, 10, v13
	v_sub_nc_u32_e32 v13, v48, v112
	v_cmpx_lt_i32_e32 0, v13
	s_cbranch_execz .LBB12_351
; %bb.348:                              ;   in Loop: Header=BB12_77 Depth=1
	v_ashrrev_i32_e32 v49, 31, v12
	v_lshlrev_b32_e32 v50, 10, v112
	s_mov_b32 s21, 0
	v_lshrrev_b32_e32 v49, 27, v49
	v_add_nc_u32_e32 v49, v12, v49
	v_and_b32_e32 v49, 0xffffffe0, v49
	v_sub_nc_u32_e32 v49, v12, v49
	v_add3_u32 v49, v10, v49, v50
	v_ashrrev_i32_e32 v50, 31, v49
.LBB12_349:                             ;   Parent Loop BB12_77 Depth=1
                                        ; =>  This Inner Loop Header: Depth=2
	v_add_co_u32 v112, vcc_lo, v49, v2
	v_add_co_ci_u32_e64 v113, null, v50, v3, vcc_lo
	v_sub_nc_u32_e32 v13, v13, v55
	s_clause 0x1f
	flat_load_ubyte v51, v[112:113] slc
	flat_load_ubyte v114, v[112:113] offset:32 slc
	flat_load_ubyte v115, v[112:113] offset:64 slc
	;; [unrolled: 1-line block ×31, first 2 shown]
	v_add_co_u32 v112, vcc_lo, v49, v37
	v_add_co_ci_u32_e64 v113, null, v50, v38, vcc_lo
	v_add_co_u32 v2, vcc_lo, v2, v70
	v_add_co_ci_u32_e64 v3, null, 0, v3, vcc_lo
	;; [unrolled: 2-line block ×3, first 2 shown]
	v_cmp_gt_i32_e32 vcc_lo, 1, v13
	s_waitcnt vmcnt(31) lgkmcnt(31)
	flat_store_byte v[112:113], v51 glc slc
	s_waitcnt vmcnt(30) lgkmcnt(31)
	flat_store_byte v[112:113], v114 offset:32 glc slc
	s_waitcnt vmcnt(29) lgkmcnt(31)
	flat_store_byte v[112:113], v115 offset:64 glc slc
	s_waitcnt vmcnt(28) lgkmcnt(31)
	flat_store_byte v[112:113], v116 offset:96 glc slc
	s_waitcnt vmcnt(27) lgkmcnt(31)
	flat_store_byte v[112:113], v117 offset:128 glc slc
	s_waitcnt vmcnt(26) lgkmcnt(31)
	flat_store_byte v[112:113], v118 offset:160 glc slc
	s_waitcnt vmcnt(25) lgkmcnt(31)
	flat_store_byte v[112:113], v119 offset:192 glc slc
	s_waitcnt vmcnt(24) lgkmcnt(31)
	flat_store_byte v[112:113], v40 offset:224 glc slc
	s_waitcnt vmcnt(23) lgkmcnt(31)
	flat_store_byte v[112:113], v41 offset:256 glc slc
	s_waitcnt vmcnt(22) lgkmcnt(31)
	flat_store_byte v[112:113], v42 offset:288 glc slc
	s_waitcnt vmcnt(21) lgkmcnt(31)
	flat_store_byte v[112:113], v43 offset:320 glc slc
	s_waitcnt vmcnt(20) lgkmcnt(31)
	flat_store_byte v[112:113], v44 offset:352 glc slc
	s_waitcnt vmcnt(19) lgkmcnt(31)
	flat_store_byte v[112:113], v45 offset:384 glc slc
	s_waitcnt vmcnt(18) lgkmcnt(31)
	flat_store_byte v[112:113], v46 offset:416 glc slc
	s_waitcnt vmcnt(17) lgkmcnt(31)
	flat_store_byte v[112:113], v47 offset:448 glc slc
	s_waitcnt vmcnt(16) lgkmcnt(31)
	flat_store_byte v[112:113], v56 offset:480 glc slc
	s_waitcnt vmcnt(15) lgkmcnt(31)
	flat_store_byte v[112:113], v57 offset:512 glc slc
	s_waitcnt vmcnt(14) lgkmcnt(31)
	flat_store_byte v[112:113], v58 offset:544 glc slc
	s_waitcnt vmcnt(13) lgkmcnt(31)
	flat_store_byte v[112:113], v59 offset:576 glc slc
	s_waitcnt vmcnt(12) lgkmcnt(31)
	flat_store_byte v[112:113], v60 offset:608 glc slc
	s_waitcnt vmcnt(11) lgkmcnt(31)
	flat_store_byte v[112:113], v61 offset:640 glc slc
	s_waitcnt vmcnt(10) lgkmcnt(31)
	flat_store_byte v[112:113], v62 offset:672 glc slc
	s_waitcnt vmcnt(9) lgkmcnt(31)
	flat_store_byte v[112:113], v63 offset:704 glc slc
	s_waitcnt vmcnt(8) lgkmcnt(31)
	flat_store_byte v[112:113], v72 offset:736 glc slc
	s_waitcnt vmcnt(7) lgkmcnt(31)
	flat_store_byte v[112:113], v73 offset:768 glc slc
	s_waitcnt vmcnt(6) lgkmcnt(31)
	flat_store_byte v[112:113], v74 offset:800 glc slc
	s_waitcnt vmcnt(5) lgkmcnt(31)
	flat_store_byte v[112:113], v75 offset:832 glc slc
	s_waitcnt vmcnt(4) lgkmcnt(31)
	flat_store_byte v[112:113], v76 offset:864 glc slc
	s_waitcnt vmcnt(3) lgkmcnt(31)
	flat_store_byte v[112:113], v77 offset:896 glc slc
	s_waitcnt vmcnt(2) lgkmcnt(31)
	flat_store_byte v[112:113], v78 offset:928 glc slc
	s_waitcnt vmcnt(1) lgkmcnt(31)
	flat_store_byte v[112:113], v79 offset:960 glc slc
	s_waitcnt vmcnt(0) lgkmcnt(31)
	flat_store_byte v[112:113], v88 offset:992 glc slc
	s_or_b32 s21, vcc_lo, s21
	s_andn2_b32 exec_lo, exec_lo, s21
	s_cbranch_execnz .LBB12_349
; %bb.350:                              ;   in Loop: Header=BB12_77 Depth=1
	s_or_b32 exec_lo, exec_lo, s21
.LBB12_351:                             ;   in Loop: Header=BB12_77 Depth=1
	s_or_b32 exec_lo, exec_lo, s19
	v_lshlrev_b32_e32 v2, 10, v48
	v_cmp_ne_u32_e32 vcc_lo, v11, v2
	s_and_b32 exec_lo, exec_lo, vcc_lo
	s_cbranch_execz .LBB12_355
; %bb.352:                              ;   in Loop: Header=BB12_77 Depth=1
	v_ashrrev_i32_e32 v3, 31, v12
	v_lshrrev_b32_e32 v3, 27, v3
	v_add_nc_u32_e32 v3, v12, v3
	v_and_b32_e32 v3, 0xffffffe0, v3
	v_sub_nc_u32_e32 v3, v12, v3
	v_lshlrev_b32_e32 v12, 5, v13
	v_sub_nc_u32_e32 v3, v3, v12
	v_add_nc_u32_e32 v12, v2, v3
	v_sub_nc_u32_e32 v11, v11, v12
	v_cmp_lt_i32_e32 vcc_lo, 0, v11
	s_and_b32 exec_lo, exec_lo, vcc_lo
	s_cbranch_execz .LBB12_355
; %bb.353:                              ;   in Loop: Header=BB12_77 Depth=1
	s_trap 2
	ds_read_b64 v[2:3], v0
	v_add_nc_u32_e32 v10, v12, v10
	s_mov_b32 s21, 0
	v_ashrrev_i32_e32 v12, 31, v10
	.p2align	6
.LBB12_354:                             ;   Parent Loop BB12_77 Depth=1
                                        ; =>  This Inner Loop Header: Depth=2
	s_waitcnt lgkmcnt(0)
	v_add_co_u32 v37, vcc_lo, v2, v10
	v_add_co_ci_u32_e64 v38, null, v3, v12, vcc_lo
	v_sub_nc_u32_e32 v11, v11, v64
	v_add_co_u32 v10, s19, v10, v86
	flat_load_ubyte v13, v[37:38] slc
	v_add_co_ci_u32_e64 v12, null, v12, v87, s19
	v_cmp_gt_i32_e32 vcc_lo, 1, v11
	s_or_b32 s21, vcc_lo, s21
	s_waitcnt vmcnt(0) lgkmcnt(0)
	flat_store_byte v[37:38], v13 glc slc
	s_andn2_b32 exec_lo, exec_lo, s21
	s_cbranch_execnz .LBB12_354
.LBB12_355:                             ;   in Loop: Header=BB12_77 Depth=1
	s_or_b32 exec_lo, exec_lo, s20
.LBB12_356:                             ;   in Loop: Header=BB12_77 Depth=1
	v_cmp_lt_i32_e64 s19, 0, v103
	s_and_saveexec_b32 s20, s7
	s_cbranch_execnz .LBB12_362
.LBB12_357:                             ;   in Loop: Header=BB12_77 Depth=1
	s_or_b32 exec_lo, exec_lo, s20
                                        ; implicit-def: $vgpr2
	s_and_saveexec_b32 s20, s15
	s_xor_b32 s20, exec_lo, s20
	s_cbranch_execz .LBB12_399
.LBB12_358:                             ;   in Loop: Header=BB12_77 Depth=1
	v_and_b32_e32 v2, 16, v52
	v_cmp_ne_u32_e32 vcc_lo, 0, v2
	v_and_b32_e32 v2, 16, v52
	s_and_b32 s21, vcc_lo, s19
	s_and_saveexec_b32 s19, s21
	s_cbranch_execz .LBB12_360
; %bb.359:                              ;   in Loop: Header=BB12_77 Depth=1
	v_mov_b32_e32 v2, 1
	s_waitcnt vmcnt(0) lgkmcnt(0)
	s_waitcnt_vscnt null, 0x0
	buffer_gl1_inv
	buffer_gl0_inv
.LBB12_360:                             ;   in Loop: Header=BB12_77 Depth=1
	s_or_b32 exec_lo, exec_lo, s19
	s_andn2_saveexec_b32 s19, s20
	s_cbranch_execz .LBB12_473
	s_branch .LBB12_400
.LBB12_361:                             ;   in Loop: Header=BB12_77 Depth=1
	s_mov_b32 s19, 0
	s_and_saveexec_b32 s20, s7
	s_cbranch_execz .LBB12_357
.LBB12_362:                             ;   in Loop: Header=BB12_77 Depth=1
	s_and_saveexec_b32 s21, s27
	s_xor_b32 s21, exec_lo, s21
	s_cbranch_execz .LBB12_396
; %bb.363:                              ;   in Loop: Header=BB12_77 Depth=1
	s_and_saveexec_b32 s22, s12
	s_cbranch_execz .LBB12_395
; %bb.364:                              ;   in Loop: Header=BB12_77 Depth=1
	s_mov_b32 s47, exec_lo
	s_mov_b32 s23, exec_lo
	v_mbcnt_lo_u32_b32 v2, s47, 0
	s_waitcnt vmcnt(0) lgkmcnt(0)
	s_waitcnt_vscnt null, 0x0
	buffer_gl1_inv
	buffer_gl0_inv
	v_cmpx_eq_u32_e32 0, v2
	s_cbranch_execz .LBB12_366
; %bb.365:                              ;   in Loop: Header=BB12_77 Depth=1
	s_bcnt1_i32_b32 s47, s47
	v_mov_b32_e32 v3, v1
	v_mov_b32_e32 v2, s47
	ds_add_u64 v0, v[2:3]
	s_trap 2
.LBB12_366:                             ;   in Loop: Header=BB12_77 Depth=1
	s_or_b32 exec_lo, exec_lo, s23
	s_trap 2
	ds_read_b64 v[2:3], v0
	s_waitcnt lgkmcnt(0)
	buffer_gl0_inv
	v_add_co_u32 v24, vcc_lo, v24, v55
	v_add_co_ci_u32_e64 v25, null, 0, v25, vcc_lo
	s_mov_b32 s23, exec_lo
	v_cmpx_lt_u64_e64 v[2:3], v[24:25]
	s_cbranch_execz .LBB12_394
; %bb.367:                              ;   in Loop: Header=BB12_77 Depth=1
	s_mov_b32 s47, 0
	s_mov_b32 s58, 0
                                        ; implicit-def: $sgpr56
                                        ; implicit-def: $sgpr57
	s_inst_prefetch 0x1
	s_branch .LBB12_369
	.p2align	6
.LBB12_368:                             ;   in Loop: Header=BB12_369 Depth=2
	s_or_b32 exec_lo, exec_lo, s60
	s_and_b32 s59, exec_lo, s61
	s_or_b32 s47, s59, s47
	s_andn2_b32 s56, s56, exec_lo
	s_and_b32 s59, s57, exec_lo
	s_or_b32 s56, s56, s59
	s_andn2_b32 exec_lo, exec_lo, s47
	s_cbranch_execz .LBB12_392
.LBB12_369:                             ;   Parent Loop BB12_77 Depth=1
                                        ; =>  This Inner Loop Header: Depth=2
	s_add_i32 s58, s58, 1
	s_cmpk_lg_i32 s58, 0x2710
	s_cselect_b32 s59, -1, 0
	s_and_b32 vcc_lo, exec_lo, s59
	s_cbranch_vccz .LBB12_371
; %bb.370:                              ;   in Loop: Header=BB12_369 Depth=2
	s_mov_b32 s61, -1
	s_or_b32 s57, s57, exec_lo
	s_and_saveexec_b32 s60, s59
	s_cbranch_execz .LBB12_368
	s_branch .LBB12_372
	.p2align	6
.LBB12_371:                             ;   in Loop: Header=BB12_369 Depth=2
	s_trap 2
	ds_read_b64 v[2:3], v0
	s_andn2_b32 s59, s59, exec_lo
	s_mov_b32 s58, 0
	s_waitcnt lgkmcnt(0)
	flat_load_dword v2, v[2:3] glc dlc
	s_waitcnt vmcnt(0) lgkmcnt(0)
	buffer_gl1_inv
	buffer_gl0_inv
	v_cmp_eq_u32_e32 vcc_lo, 0, v2
	s_and_b32 s60, vcc_lo, exec_lo
	s_or_b32 s59, s59, s60
	s_mov_b32 s61, -1
	s_or_b32 s57, s57, exec_lo
	s_and_saveexec_b32 s60, s59
	s_cbranch_execz .LBB12_368
.LBB12_372:                             ;   in Loop: Header=BB12_369 Depth=2
	s_sleep 1
	s_trap 2
	ds_read_b64 v[2:3], v0
	s_waitcnt lgkmcnt(0)
	buffer_gl0_inv
	s_andn2_b32 s57, s57, exec_lo
	v_cmp_ge_u64_e32 vcc_lo, v[2:3], v[24:25]
	s_orn2_b32 s61, vcc_lo, exec_lo
	s_branch .LBB12_368
.LBB12_373:                             ;   in Loop: Header=BB12_77 Depth=1
	s_inst_prefetch 0x2
	s_or_b32 exec_lo, exec_lo, s46
	s_and_saveexec_b32 s46, s47
	s_xor_b32 s46, exec_lo, s46
	s_cbranch_execz .LBB12_375
; %bb.374:                              ;   in Loop: Header=BB12_77 Depth=1
	ds_write_b32 v0, v66
	s_trap 2
.LBB12_375:                             ;   in Loop: Header=BB12_77 Depth=1
	s_or_b32 exec_lo, exec_lo, s23
	;;#ASMSTART
	s_wakeup
	;;#ASMEND
.LBB12_376:                             ;   in Loop: Header=BB12_77 Depth=1
	s_or_b32 exec_lo, exec_lo, s22
.LBB12_377:                             ;   in Loop: Header=BB12_77 Depth=1
	s_andn2_saveexec_b32 s21, s21
	s_cbranch_execz .LBB12_379
; %bb.378:                              ;   in Loop: Header=BB12_77 Depth=1
	s_waitcnt vmcnt(0) lgkmcnt(0)
	s_waitcnt_vscnt null, 0x0
	buffer_gl1_inv
	buffer_gl0_inv
	s_barrier
.LBB12_379:                             ;   in Loop: Header=BB12_77 Depth=1
	s_or_b32 exec_lo, exec_lo, s21
	s_or_b32 exec_lo, exec_lo, s20
                                        ; implicit-def: $vgpr2
	s_and_saveexec_b32 s20, s15
	s_xor_b32 s20, exec_lo, s20
	s_cbranch_execnz .LBB12_270
.LBB12_380:                             ;   in Loop: Header=BB12_77 Depth=1
	s_andn2_saveexec_b32 s19, s20
	s_cbranch_execz .LBB12_418
.LBB12_381:                             ;   in Loop: Header=BB12_77 Depth=1
	s_and_saveexec_b32 s20, s27
	s_xor_b32 s20, exec_lo, s20
	s_cbranch_execz .LBB12_415
; %bb.382:                              ;   in Loop: Header=BB12_77 Depth=1
	s_and_saveexec_b32 s21, s12
	s_cbranch_execz .LBB12_414
; %bb.383:                              ;   in Loop: Header=BB12_77 Depth=1
	s_mov_b32 s23, exec_lo
	s_mov_b32 s22, exec_lo
	v_mbcnt_lo_u32_b32 v2, s23, 0
	;;#ASMSTART
	s_waitcnt lgkmcnt(0) vmcnt(0)
	;;#ASMEND
	v_cmpx_eq_u32_e32 0, v2
	s_cbranch_execz .LBB12_385
; %bb.384:                              ;   in Loop: Header=BB12_77 Depth=1
	s_bcnt1_i32_b32 s23, s23
	v_mov_b32_e32 v3, v1
	v_mov_b32_e32 v2, s23
	s_waitcnt vmcnt(0) lgkmcnt(0)
	s_waitcnt_vscnt null, 0x0
	ds_add_u64 v0, v[2:3]
	s_trap 2
.LBB12_385:                             ;   in Loop: Header=BB12_77 Depth=1
	s_or_b32 exec_lo, exec_lo, s22
	s_trap 2
	ds_read_b64 v[2:3], v0
	s_waitcnt vmcnt(0) lgkmcnt(0)
	buffer_gl0_inv
	v_add_co_u32 v24, vcc_lo, v24, v55
	v_add_co_ci_u32_e64 v25, null, 0, v25, vcc_lo
	s_mov_b32 s22, exec_lo
	v_cmpx_lt_u64_e64 v[2:3], v[24:25]
	s_cbranch_execz .LBB12_413
; %bb.386:                              ;   in Loop: Header=BB12_77 Depth=1
	s_mov_b32 s23, 0
	s_mov_b32 s56, 0
                                        ; implicit-def: $sgpr46
                                        ; implicit-def: $sgpr47
	s_inst_prefetch 0x1
	s_branch .LBB12_388
	.p2align	6
.LBB12_387:                             ;   in Loop: Header=BB12_388 Depth=2
	s_or_b32 exec_lo, exec_lo, s58
	s_and_b32 s57, exec_lo, s59
	s_or_b32 s23, s57, s23
	s_andn2_b32 s46, s46, exec_lo
	s_and_b32 s57, s47, exec_lo
	s_or_b32 s46, s46, s57
	s_andn2_b32 exec_lo, exec_lo, s23
	s_cbranch_execz .LBB12_411
.LBB12_388:                             ;   Parent Loop BB12_77 Depth=1
                                        ; =>  This Inner Loop Header: Depth=2
	s_add_i32 s56, s56, 1
	s_cmpk_lg_i32 s56, 0x2710
	s_cselect_b32 s57, -1, 0
	s_and_b32 vcc_lo, exec_lo, s57
	s_cbranch_vccz .LBB12_390
; %bb.389:                              ;   in Loop: Header=BB12_388 Depth=2
	s_mov_b32 s59, -1
	s_or_b32 s47, s47, exec_lo
	s_and_saveexec_b32 s58, s57
	s_cbranch_execz .LBB12_387
	s_branch .LBB12_391
	.p2align	6
.LBB12_390:                             ;   in Loop: Header=BB12_388 Depth=2
	s_trap 2
	ds_read_b64 v[2:3], v0
	s_andn2_b32 s57, s57, exec_lo
	s_mov_b32 s56, 0
	s_waitcnt lgkmcnt(0)
	s_waitcnt_vscnt null, 0x0
	flat_load_dword v2, v[2:3] glc dlc
	s_waitcnt vmcnt(0) lgkmcnt(0)
	buffer_gl1_inv
	buffer_gl0_inv
	v_cmp_eq_u32_e32 vcc_lo, 0, v2
	s_and_b32 s58, vcc_lo, exec_lo
	s_or_b32 s57, s57, s58
	s_mov_b32 s59, -1
	s_or_b32 s47, s47, exec_lo
	s_and_saveexec_b32 s58, s57
	s_cbranch_execz .LBB12_387
.LBB12_391:                             ;   in Loop: Header=BB12_388 Depth=2
	s_sleep 1
	s_trap 2
	ds_read_b64 v[2:3], v0
	s_waitcnt lgkmcnt(0)
	buffer_gl0_inv
	s_andn2_b32 s47, s47, exec_lo
	v_cmp_ge_u64_e32 vcc_lo, v[2:3], v[24:25]
	s_orn2_b32 s59, vcc_lo, exec_lo
	s_branch .LBB12_387
.LBB12_392:                             ;   in Loop: Header=BB12_77 Depth=1
	s_inst_prefetch 0x2
	s_or_b32 exec_lo, exec_lo, s47
	s_and_saveexec_b32 s47, s56
	s_xor_b32 s47, exec_lo, s47
	s_cbranch_execz .LBB12_394
; %bb.393:                              ;   in Loop: Header=BB12_77 Depth=1
	ds_write_b32 v0, v66
	s_trap 2
.LBB12_394:                             ;   in Loop: Header=BB12_77 Depth=1
	s_or_b32 exec_lo, exec_lo, s23
	;;#ASMSTART
	s_wakeup
	;;#ASMEND
.LBB12_395:                             ;   in Loop: Header=BB12_77 Depth=1
	s_or_b32 exec_lo, exec_lo, s22
.LBB12_396:                             ;   in Loop: Header=BB12_77 Depth=1
	s_andn2_saveexec_b32 s21, s21
	s_cbranch_execz .LBB12_398
; %bb.397:                              ;   in Loop: Header=BB12_77 Depth=1
	s_waitcnt vmcnt(0) lgkmcnt(0)
	s_waitcnt_vscnt null, 0x0
	buffer_gl1_inv
	buffer_gl0_inv
	s_barrier
.LBB12_398:                             ;   in Loop: Header=BB12_77 Depth=1
	s_or_b32 exec_lo, exec_lo, s21
	s_or_b32 exec_lo, exec_lo, s20
                                        ; implicit-def: $vgpr2
	s_and_saveexec_b32 s20, s15
	s_xor_b32 s20, exec_lo, s20
	s_cbranch_execnz .LBB12_358
.LBB12_399:                             ;   in Loop: Header=BB12_77 Depth=1
	s_andn2_saveexec_b32 s19, s20
	s_cbranch_execz .LBB12_473
.LBB12_400:                             ;   in Loop: Header=BB12_77 Depth=1
	s_and_saveexec_b32 s20, s27
	s_xor_b32 s20, exec_lo, s20
	s_cbranch_execz .LBB12_470
; %bb.401:                              ;   in Loop: Header=BB12_77 Depth=1
	s_and_saveexec_b32 s21, s12
	s_cbranch_execz .LBB12_469
; %bb.402:                              ;   in Loop: Header=BB12_77 Depth=1
	s_mov_b32 s23, exec_lo
	s_mov_b32 s22, exec_lo
	v_mbcnt_lo_u32_b32 v2, s23, 0
	;;#ASMSTART
	s_waitcnt lgkmcnt(0) vmcnt(0)
	;;#ASMEND
	v_cmpx_eq_u32_e32 0, v2
	s_cbranch_execz .LBB12_404
; %bb.403:                              ;   in Loop: Header=BB12_77 Depth=1
	s_bcnt1_i32_b32 s23, s23
	v_mov_b32_e32 v3, v1
	v_mov_b32_e32 v2, s23
	s_waitcnt vmcnt(0) lgkmcnt(0)
	s_waitcnt_vscnt null, 0x0
	ds_add_u64 v0, v[2:3]
	s_trap 2
.LBB12_404:                             ;   in Loop: Header=BB12_77 Depth=1
	s_or_b32 exec_lo, exec_lo, s22
	s_trap 2
	ds_read_b64 v[2:3], v0
	s_waitcnt vmcnt(0) lgkmcnt(0)
	buffer_gl0_inv
	v_add_co_u32 v24, vcc_lo, v24, v55
	v_add_co_ci_u32_e64 v25, null, 0, v25, vcc_lo
	s_mov_b32 s22, exec_lo
	v_cmpx_lt_u64_e64 v[2:3], v[24:25]
	s_cbranch_execz .LBB12_468
; %bb.405:                              ;   in Loop: Header=BB12_77 Depth=1
	s_mov_b32 s23, 0
	s_mov_b32 s57, 0
                                        ; implicit-def: $sgpr47
                                        ; implicit-def: $sgpr56
	s_inst_prefetch 0x1
	s_branch .LBB12_407
	.p2align	6
.LBB12_406:                             ;   in Loop: Header=BB12_407 Depth=2
	s_or_b32 exec_lo, exec_lo, s59
	s_and_b32 s58, exec_lo, s60
	s_or_b32 s23, s58, s23
	s_andn2_b32 s47, s47, exec_lo
	s_and_b32 s58, s56, exec_lo
	s_or_b32 s47, s47, s58
	s_andn2_b32 exec_lo, exec_lo, s23
	s_cbranch_execz .LBB12_466
.LBB12_407:                             ;   Parent Loop BB12_77 Depth=1
                                        ; =>  This Inner Loop Header: Depth=2
	s_add_i32 s57, s57, 1
	s_cmpk_lg_i32 s57, 0x2710
	s_cselect_b32 s58, -1, 0
	s_and_b32 vcc_lo, exec_lo, s58
	s_cbranch_vccz .LBB12_409
; %bb.408:                              ;   in Loop: Header=BB12_407 Depth=2
	s_mov_b32 s60, -1
	s_or_b32 s56, s56, exec_lo
	s_and_saveexec_b32 s59, s58
	s_cbranch_execz .LBB12_406
	s_branch .LBB12_410
	.p2align	6
.LBB12_409:                             ;   in Loop: Header=BB12_407 Depth=2
	s_trap 2
	ds_read_b64 v[2:3], v0
	s_andn2_b32 s58, s58, exec_lo
	s_mov_b32 s57, 0
	s_waitcnt lgkmcnt(0)
	s_waitcnt_vscnt null, 0x0
	flat_load_dword v2, v[2:3] glc dlc
	s_waitcnt vmcnt(0) lgkmcnt(0)
	buffer_gl1_inv
	buffer_gl0_inv
	v_cmp_eq_u32_e32 vcc_lo, 0, v2
	s_and_b32 s59, vcc_lo, exec_lo
	s_or_b32 s58, s58, s59
	s_mov_b32 s60, -1
	s_or_b32 s56, s56, exec_lo
	s_and_saveexec_b32 s59, s58
	s_cbranch_execz .LBB12_406
.LBB12_410:                             ;   in Loop: Header=BB12_407 Depth=2
	s_sleep 1
	s_trap 2
	ds_read_b64 v[2:3], v0
	s_waitcnt lgkmcnt(0)
	buffer_gl0_inv
	s_andn2_b32 s56, s56, exec_lo
	v_cmp_ge_u64_e32 vcc_lo, v[2:3], v[24:25]
	s_orn2_b32 s60, vcc_lo, exec_lo
	s_branch .LBB12_406
.LBB12_411:                             ;   in Loop: Header=BB12_77 Depth=1
	s_inst_prefetch 0x2
	s_or_b32 exec_lo, exec_lo, s23
	s_and_saveexec_b32 s23, s46
	s_xor_b32 s23, exec_lo, s23
	s_cbranch_execz .LBB12_413
; %bb.412:                              ;   in Loop: Header=BB12_77 Depth=1
	ds_write_b32 v0, v66
	s_trap 2
.LBB12_413:                             ;   in Loop: Header=BB12_77 Depth=1
	s_or_b32 exec_lo, exec_lo, s22
	;;#ASMSTART
	s_wakeup
	;;#ASMEND
.LBB12_414:                             ;   in Loop: Header=BB12_77 Depth=1
	s_or_b32 exec_lo, exec_lo, s21
.LBB12_415:                             ;   in Loop: Header=BB12_77 Depth=1
	s_andn2_saveexec_b32 s20, s20
	s_cbranch_execz .LBB12_417
; %bb.416:                              ;   in Loop: Header=BB12_77 Depth=1
	;;#ASMSTART
	s_waitcnt lgkmcnt(0) vmcnt(0)
	;;#ASMEND
	s_barrier
.LBB12_417:                             ;   in Loop: Header=BB12_77 Depth=1
	s_or_b32 exec_lo, exec_lo, s20
	v_and_b32_e32 v2, 16, v52
.LBB12_418:                             ;   in Loop: Header=BB12_77 Depth=1
	s_or_b32 exec_lo, exec_lo, s19
	v_cmp_ne_u32_e32 vcc_lo, 0, v2
	s_xor_b32 s19, s10, -1
	s_and_b32 s20, vcc_lo, s19
	s_and_saveexec_b32 s19, s20
	s_cbranch_execz .LBB12_420
; %bb.419:                              ;   in Loop: Header=BB12_77 Depth=1
	s_waitcnt vmcnt(0) lgkmcnt(0)
	s_waitcnt_vscnt null, 0x0
	flat_store_dword v[26:27], v66
.LBB12_420:                             ;   in Loop: Header=BB12_77 Depth=1
	s_or_b32 exec_lo, exec_lo, s19
	v_and_b32_e32 v2, 48, v52
	s_mov_b32 s19, exec_lo
	v_cmpx_ne_u32_e32 0, v2
	s_cbranch_execz .LBB12_422
; %bb.421:                              ;   in Loop: Header=BB12_77 Depth=1
	v_add_co_u32 v8, vcc_lo, v8, 1
	v_add_co_ci_u32_e64 v9, null, 0, v9, vcc_lo
	s_waitcnt vmcnt(0) lgkmcnt(0)
	s_waitcnt_vscnt null, 0x0
	flat_store_dwordx2 v[20:21], v[8:9]
.LBB12_422:                             ;   in Loop: Header=BB12_77 Depth=1
	s_or_b32 exec_lo, exec_lo, s19
	v_mov_b32_e32 v10, v36
.LBB12_423:                             ;   in Loop: Header=BB12_77 Depth=1
	s_or_b32 exec_lo, exec_lo, s45
	s_mov_b32 s19, 0
	s_and_saveexec_b32 s20, s17
	s_cbranch_execz .LBB12_565
; %bb.424:                              ;   in Loop: Header=BB12_77 Depth=1
	v_sub_nc_u32_e32 v2, v102, v10
	v_and_b32_e32 v3, 12, v52
	s_mov_b32 s21, exec_lo
	v_min_i32_e32 v2, v36, v2
	v_cmpx_ne_u32_e32 0, v3
	s_cbranch_execz .LBB12_434
; %bb.425:                              ;   in Loop: Header=BB12_77 Depth=1
	v_and_b32_e32 v38, 8, v52
	s_mov_b32 s22, exec_lo
	s_waitcnt vmcnt(0) lgkmcnt(1)
	v_add_co_u32 v12, vcc_lo, v28, v38
	v_add_co_ci_u32_e64 v13, null, 0, v29, vcc_lo
	v_add_co_u32 v10, vcc_lo, v8, 1
	v_add_co_ci_u32_e64 v11, null, 0, v9, vcc_lo
	v_cmpx_lt_u64_e64 v[12:13], v[10:11]
	s_cbranch_execz .LBB12_442
; %bb.426:                              ;   in Loop: Header=BB12_77 Depth=1
	v_and_b32_e32 v3, 64, v52
	s_mov_b32 s23, 0
	s_mov_b32 s56, 0
                                        ; implicit-def: $sgpr45
                                        ; implicit-def: $sgpr46
                                        ; implicit-def: $sgpr47
	v_cmp_eq_u32_e32 vcc_lo, 0, v3
	s_branch .LBB12_430
.LBB12_427:                             ;   in Loop: Header=BB12_430 Depth=2
	s_waitcnt vmcnt(0) lgkmcnt(0)
	v_add_co_u32 v12, s19, v28, v38
	v_add_co_ci_u32_e64 v13, null, 0, v29, s19
	s_or_b32 s59, s59, exec_lo
	v_cmp_ge_u64_e64 s19, v[12:13], v[10:11]
	s_orn2_b32 s58, s19, exec_lo
.LBB12_428:                             ;   in Loop: Header=BB12_430 Depth=2
	s_or_b32 exec_lo, exec_lo, s61
	s_andn2_b32 s19, s47, exec_lo
	s_and_b32 s47, s59, exec_lo
	s_andn2_b32 s46, s46, exec_lo
	s_and_b32 s58, s58, exec_lo
	s_or_b32 s47, s19, s47
	s_or_b32 s46, s46, s58
.LBB12_429:                             ;   in Loop: Header=BB12_430 Depth=2
	s_or_b32 exec_lo, exec_lo, s57
	s_and_b32 s19, exec_lo, s46
	s_or_b32 s23, s19, s23
	s_andn2_b32 s19, s45, exec_lo
	s_and_b32 s45, s47, exec_lo
	s_or_b32 s45, s19, s45
	s_andn2_b32 exec_lo, exec_lo, s23
	s_cbranch_execz .LBB12_439
.LBB12_430:                             ;   Parent Loop BB12_77 Depth=1
                                        ; =>  This Inner Loop Header: Depth=2
	s_sleep 1
	s_waitcnt vmcnt(0) lgkmcnt(0)
	flat_load_dwordx2 v[28:29], v[20:21] glc dlc
	s_or_b32 s47, s47, exec_lo
	s_or_b32 s46, s46, exec_lo
                                        ; implicit-def: $vgpr3
	s_and_saveexec_b32 s57, vcc_lo
	s_cbranch_execz .LBB12_429
; %bb.431:                              ;   in Loop: Header=BB12_430 Depth=2
	s_cmpk_lt_i32 s56, 0x270f
	s_mov_b32 s58, -1
	s_cselect_b32 s60, -1, 0
	s_cmpk_gt_i32 s56, 0x270e
	s_cbranch_scc0 .LBB12_433
; %bb.432:                              ;   in Loop: Header=BB12_430 Depth=2
	s_trap 2
	ds_read_b64 v[12:13], v0
	s_andn2_b32 s56, s60, exec_lo
	s_mov_b32 s59, 0
	s_waitcnt vmcnt(0) lgkmcnt(0)
	s_waitcnt_vscnt null, 0x0
	flat_load_dword v3, v[12:13] glc dlc
	s_waitcnt vmcnt(0) lgkmcnt(0)
	buffer_gl1_inv
	buffer_gl0_inv
	v_cmp_eq_u32_e64 s19, 0, v3
	s_and_b32 s19, s19, exec_lo
	s_or_b32 s60, s56, s19
	s_mov_b32 s56, 0
	s_and_saveexec_b32 s61, s60
	s_cbranch_execz .LBB12_428
	s_branch .LBB12_427
.LBB12_433:                             ;   in Loop: Header=BB12_430 Depth=2
	s_add_i32 s56, s56, 1
	s_mov_b32 s59, -1
                                        ; implicit-def: $vgpr3
	s_and_saveexec_b32 s61, s60
	s_cbranch_execz .LBB12_428
	s_branch .LBB12_427
.LBB12_434:                             ;   in Loop: Header=BB12_77 Depth=1
	s_or_b32 exec_lo, exec_lo, s21
	s_and_saveexec_b32 s19, s7
	s_cbranch_execnz .LBB12_455
.LBB12_435:                             ;   in Loop: Header=BB12_77 Depth=1
	s_or_b32 exec_lo, exec_lo, s19
                                        ; implicit-def: $vgpr3
	s_and_saveexec_b32 s19, s15
	s_xor_b32 s21, exec_lo, s19
	s_cbranch_execz .LBB12_524
.LBB12_436:                             ;   in Loop: Header=BB12_77 Depth=1
	s_trap 2
	ds_read_b32 v3, v0
	v_cmp_lt_i32_e32 vcc_lo, 0, v2
	s_waitcnt lgkmcnt(0)
	v_readfirstlane_b32 s19, v3
	v_and_b32_e32 v3, 16, v52
	s_cmp_eq_u32 s19, 0
	v_cmp_ne_u32_e64 s19, 0, v3
	s_cselect_b32 s22, -1, 0
	v_and_b32_e32 v3, 16, v52
	s_and_b32 s22, vcc_lo, s22
	s_and_b32 s22, s19, s22
	s_and_saveexec_b32 s19, s22
	s_cbranch_execz .LBB12_438
; %bb.437:                              ;   in Loop: Header=BB12_77 Depth=1
	v_mov_b32_e32 v3, 1
	s_waitcnt vmcnt(0)
	s_waitcnt_vscnt null, 0x0
	buffer_gl1_inv
	buffer_gl0_inv
.LBB12_438:                             ;   in Loop: Header=BB12_77 Depth=1
	s_or_b32 exec_lo, exec_lo, s19
	s_andn2_saveexec_b32 s19, s21
	s_cbranch_execz .LBB12_562
	s_branch .LBB12_525
.LBB12_439:                             ;   in Loop: Header=BB12_77 Depth=1
	s_or_b32 exec_lo, exec_lo, s23
	s_xor_b32 s19, s45, -1
	s_and_saveexec_b32 s23, s19
	s_xor_b32 s19, exec_lo, s23
	s_cbranch_execz .LBB12_441
; %bb.440:                              ;   in Loop: Header=BB12_77 Depth=1
	v_or_b32_e32 v52, 64, v52
	s_waitcnt vmcnt(0) lgkmcnt(0)
	s_waitcnt_vscnt null, 0x0
	ds_write_b32 v0, v3
	s_trap 2
.LBB12_441:                             ;   in Loop: Header=BB12_77 Depth=1
	s_or_b32 exec_lo, exec_lo, s19
.LBB12_442:                             ;   in Loop: Header=BB12_77 Depth=1
	s_or_b32 exec_lo, exec_lo, s22
	v_and_b32_e32 v3, 0x108, v52
	s_mov_b32 s19, exec_lo
	;;#ASMSTART
	s_wakeup
	;;#ASMEND
                                        ; implicit-def: $vgpr12_vgpr13
	v_cmpx_ne_u32_e32 0x108, v3
	s_xor_b32 s19, exec_lo, s19
; %bb.443:                              ;   in Loop: Header=BB12_77 Depth=1
	v_and_b32_e32 v12, 7, v8
	v_mov_b32_e32 v13, v1
; %bb.444:                              ;   in Loop: Header=BB12_77 Depth=1
	s_andn2_saveexec_b32 s19, s19
	s_cbranch_execz .LBB12_446
; %bb.445:                              ;   in Loop: Header=BB12_77 Depth=1
	v_and_b32_e32 v12, 7, v8
	v_ashrrev_i32_e32 v3, 31, v2
	v_mov_b32_e32 v13, v1
	v_mad_u64_u32 v[8:9], null, v12, 24, v[6:7]
	flat_store_dwordx2 v[8:9], v[2:3] offset:8
.LBB12_446:                             ;   in Loop: Header=BB12_77 Depth=1
	s_or_b32 exec_lo, exec_lo, s19
	v_and_b32_e32 v3, 0x100, v52
	s_mov_b32 s19, -1
	s_mov_b32 s22, exec_lo
                                        ; implicit-def: $vgpr8_vgpr9
	v_cmpx_ne_u32_e32 0, v3
	s_cbranch_execz .LBB12_450
; %bb.447:                              ;   in Loop: Header=BB12_77 Depth=1
	v_mad_u64_u32 v[36:37], null, v12, 24, v[6:7]
	s_mov_b32 s23, exec_lo
	v_mov_b32_e32 v3, v37
	v_mad_u64_u32 v[8:9], null, v13, 24, v[3:4]
	v_mov_b32_e32 v37, v8
                                        ; implicit-def: $vgpr8_vgpr9
	flat_load_dword v3, v[36:37]
	s_waitcnt vmcnt(0) lgkmcnt(0)
	v_cmp_ne_u32_e32 vcc_lo, 1, v3
	v_cmpx_eq_u32_e32 1, v3
	s_cbranch_execz .LBB12_449
; %bb.448:                              ;   in Loop: Header=BB12_77 Depth=1
	flat_load_dword v8, v[36:37] offset:4 glc dlc
	s_waitcnt vmcnt(0) lgkmcnt(0)
	v_ashrrev_i32_e32 v9, 31, v8
.LBB12_449:                             ;   in Loop: Header=BB12_77 Depth=1
	s_or_b32 exec_lo, exec_lo, s23
	s_orn2_b32 s19, vcc_lo, exec_lo
.LBB12_450:                             ;   in Loop: Header=BB12_77 Depth=1
	s_or_b32 exec_lo, exec_lo, s22
	s_and_saveexec_b32 s22, s19
; %bb.451:                              ;   in Loop: Header=BB12_77 Depth=1
	v_mul_lo_u32 v3, v13, v53
	v_mul_lo_u32 v13, v12, v54
	v_mad_u64_u32 v[8:9], null, v12, v53, 0
	v_add3_u32 v9, v9, v13, v3
; %bb.452:                              ;   in Loop: Header=BB12_77 Depth=1
	s_or_b32 exec_lo, exec_lo, s22
	v_cmp_eq_u32_e32 vcc_lo, 0, v38
	v_and_b32_e32 v12, 0x2000, v52
	s_mov_b32 s19, exec_lo
	v_cndmask_b32_e32 v3, 0xd0, v67, vcc_lo
	v_add_co_u32 v8, vcc_lo, v22, v8
	v_add_co_ci_u32_e64 v9, null, v23, v9, vcc_lo
	v_add_nc_u32_e32 v3, v0, v3
	ds_write_b64 v3, v[8:9] offset:584
	v_cmpx_ne_u32_e32 0, v12
	s_cbranch_execz .LBB12_454
; %bb.453:                              ;   in Loop: Header=BB12_77 Depth=1
	ds_read_b64 v[8:9], v0 offset:872
	s_waitcnt lgkmcnt(0)
	v_add_co_u32 v8, vcc_lo, v8, 1
	v_add_co_ci_u32_e64 v9, null, 0, v9, vcc_lo
	ds_write_b64 v0, v[8:9] offset:872
.LBB12_454:                             ;   in Loop: Header=BB12_77 Depth=1
	s_or_b32 exec_lo, exec_lo, s19
	v_mov_b32_e32 v8, v10
	v_mov_b32_e32 v9, v11
	s_or_b32 exec_lo, exec_lo, s21
	s_and_saveexec_b32 s19, s7
	s_cbranch_execz .LBB12_435
.LBB12_455:                             ;   in Loop: Header=BB12_77 Depth=1
	s_and_saveexec_b32 s21, s27
	s_xor_b32 s21, exec_lo, s21
	s_cbranch_execz .LBB12_521
; %bb.456:                              ;   in Loop: Header=BB12_77 Depth=1
	s_and_saveexec_b32 s22, s12
	s_cbranch_execz .LBB12_520
; %bb.457:                              ;   in Loop: Header=BB12_77 Depth=1
	s_mov_b32 s45, exec_lo
	s_mov_b32 s23, exec_lo
	v_mbcnt_lo_u32_b32 v3, s45, 0
	s_waitcnt vmcnt(0) lgkmcnt(0)
	s_waitcnt_vscnt null, 0x0
	buffer_gl1_inv
	buffer_gl0_inv
	v_cmpx_eq_u32_e32 0, v3
	s_cbranch_execz .LBB12_459
; %bb.458:                              ;   in Loop: Header=BB12_77 Depth=1
	s_bcnt1_i32_b32 s45, s45
	v_mov_b32_e32 v11, v1
	v_mov_b32_e32 v10, s45
	ds_add_u64 v0, v[10:11]
	s_trap 2
.LBB12_459:                             ;   in Loop: Header=BB12_77 Depth=1
	s_or_b32 exec_lo, exec_lo, s23
	s_trap 2
	ds_read_b64 v[10:11], v0
	s_waitcnt lgkmcnt(0)
	buffer_gl0_inv
	v_add_co_u32 v24, vcc_lo, v24, v55
	v_add_co_ci_u32_e64 v25, null, 0, v25, vcc_lo
	s_mov_b32 s23, exec_lo
	v_cmpx_lt_u64_e64 v[10:11], v[24:25]
	s_cbranch_execz .LBB12_519
; %bb.460:                              ;   in Loop: Header=BB12_77 Depth=1
	s_mov_b32 s45, 0
	s_mov_b32 s56, 0
                                        ; implicit-def: $sgpr46
                                        ; implicit-def: $sgpr47
	s_inst_prefetch 0x1
	s_branch .LBB12_462
	.p2align	6
.LBB12_461:                             ;   in Loop: Header=BB12_462 Depth=2
	s_or_b32 exec_lo, exec_lo, s58
	s_and_b32 s57, exec_lo, s59
	s_or_b32 s45, s57, s45
	s_andn2_b32 s46, s46, exec_lo
	s_and_b32 s57, s47, exec_lo
	s_or_b32 s46, s46, s57
	s_andn2_b32 exec_lo, exec_lo, s45
	s_cbranch_execz .LBB12_517
.LBB12_462:                             ;   Parent Loop BB12_77 Depth=1
                                        ; =>  This Inner Loop Header: Depth=2
	s_add_i32 s56, s56, 1
	s_cmpk_lg_i32 s56, 0x2710
	s_cselect_b32 s57, -1, 0
	s_and_b32 vcc_lo, exec_lo, s57
	s_cbranch_vccz .LBB12_464
; %bb.463:                              ;   in Loop: Header=BB12_462 Depth=2
	s_mov_b32 s59, -1
	s_or_b32 s47, s47, exec_lo
	s_and_saveexec_b32 s58, s57
	s_cbranch_execz .LBB12_461
	s_branch .LBB12_465
	.p2align	6
.LBB12_464:                             ;   in Loop: Header=BB12_462 Depth=2
	s_trap 2
	ds_read_b64 v[10:11], v0
	s_andn2_b32 s57, s57, exec_lo
	s_mov_b32 s56, 0
	s_waitcnt lgkmcnt(0)
	flat_load_dword v3, v[10:11] glc dlc
	s_waitcnt vmcnt(0) lgkmcnt(0)
	buffer_gl1_inv
	buffer_gl0_inv
	v_cmp_eq_u32_e32 vcc_lo, 0, v3
	s_and_b32 s58, vcc_lo, exec_lo
	s_or_b32 s57, s57, s58
	s_mov_b32 s59, -1
	s_or_b32 s47, s47, exec_lo
	s_and_saveexec_b32 s58, s57
	s_cbranch_execz .LBB12_461
.LBB12_465:                             ;   in Loop: Header=BB12_462 Depth=2
	s_sleep 1
	s_trap 2
	ds_read_b64 v[10:11], v0
	s_waitcnt lgkmcnt(0)
	buffer_gl0_inv
	s_andn2_b32 s47, s47, exec_lo
	v_cmp_ge_u64_e32 vcc_lo, v[10:11], v[24:25]
	s_orn2_b32 s59, vcc_lo, exec_lo
	s_branch .LBB12_461
.LBB12_466:                             ;   in Loop: Header=BB12_77 Depth=1
	s_inst_prefetch 0x2
	s_or_b32 exec_lo, exec_lo, s23
	s_and_saveexec_b32 s23, s47
	s_xor_b32 s23, exec_lo, s23
	s_cbranch_execz .LBB12_468
; %bb.467:                              ;   in Loop: Header=BB12_77 Depth=1
	ds_write_b32 v0, v66
	s_trap 2
.LBB12_468:                             ;   in Loop: Header=BB12_77 Depth=1
	s_or_b32 exec_lo, exec_lo, s22
	;;#ASMSTART
	s_wakeup
	;;#ASMEND
.LBB12_469:                             ;   in Loop: Header=BB12_77 Depth=1
	s_or_b32 exec_lo, exec_lo, s21
.LBB12_470:                             ;   in Loop: Header=BB12_77 Depth=1
	s_andn2_saveexec_b32 s20, s20
	s_cbranch_execz .LBB12_472
; %bb.471:                              ;   in Loop: Header=BB12_77 Depth=1
	;;#ASMSTART
	s_waitcnt lgkmcnt(0) vmcnt(0)
	;;#ASMEND
	s_barrier
.LBB12_472:                             ;   in Loop: Header=BB12_77 Depth=1
	s_or_b32 exec_lo, exec_lo, s20
	v_and_b32_e32 v2, 16, v52
.LBB12_473:                             ;   in Loop: Header=BB12_77 Depth=1
	s_or_b32 exec_lo, exec_lo, s19
	s_mov_b32 s19, exec_lo
	v_cmpx_ne_u32_e32 0, v2
	s_cbranch_execz .LBB12_477
; %bb.474:                              ;   in Loop: Header=BB12_77 Depth=1
	s_and_saveexec_b32 s20, s11
	s_cbranch_execz .LBB12_476
; %bb.475:                              ;   in Loop: Header=BB12_77 Depth=1
	s_waitcnt vmcnt(0) lgkmcnt(0)
	s_waitcnt_vscnt null, 0x0
	flat_store_dword v[26:27], v66
.LBB12_476:                             ;   in Loop: Header=BB12_77 Depth=1
	s_or_b32 exec_lo, exec_lo, s20
	v_add_co_u32 v8, vcc_lo, v8, 1
	v_add_co_ci_u32_e64 v9, null, 0, v9, vcc_lo
	s_waitcnt vmcnt(0) lgkmcnt(0)
	s_waitcnt_vscnt null, 0x0
	flat_store_dwordx2 v[20:21], v[8:9]
.LBB12_477:                             ;   in Loop: Header=BB12_77 Depth=1
	s_or_b32 exec_lo, exec_lo, s19
	v_mov_b32_e32 v10, v36
.LBB12_478:                             ;   in Loop: Header=BB12_77 Depth=1
	s_or_b32 exec_lo, exec_lo, s46
	s_mov_b32 s19, 0
	s_mov_b32 s21, s43
	s_and_saveexec_b32 s20, s17
	s_cbranch_execz .LBB12_614
; %bb.479:                              ;   in Loop: Header=BB12_77 Depth=1
	v_sub_nc_u32_e32 v2, v102, v10
	v_and_b32_e32 v3, 8, v52
	s_mov_b32 s21, exec_lo
	v_min_i32_e32 v2, v36, v2
	v_cmpx_ne_u32_e32 0, v3
	s_cbranch_execz .LBB12_489
; %bb.480:                              ;   in Loop: Header=BB12_77 Depth=1
	s_waitcnt vmcnt(0) lgkmcnt(1)
	v_add_co_u32 v12, vcc_lo, v28, 8
	v_add_co_ci_u32_e64 v13, null, 0, v29, vcc_lo
	v_add_co_u32 v10, vcc_lo, v8, 1
	v_add_co_ci_u32_e64 v11, null, 0, v9, vcc_lo
	s_mov_b32 s22, exec_lo
	v_cmpx_lt_u64_e64 v[12:13], v[10:11]
	s_cbranch_execz .LBB12_497
; %bb.481:                              ;   in Loop: Header=BB12_77 Depth=1
	v_and_b32_e32 v3, 64, v52
	s_mov_b32 s23, 0
	s_mov_b32 s57, 0
                                        ; implicit-def: $sgpr46
                                        ; implicit-def: $sgpr47
                                        ; implicit-def: $sgpr56
	v_cmp_eq_u32_e32 vcc_lo, 0, v3
	s_branch .LBB12_485
.LBB12_482:                             ;   in Loop: Header=BB12_485 Depth=2
	s_waitcnt vmcnt(0) lgkmcnt(0)
	v_add_co_u32 v12, s19, v28, 8
	v_add_co_ci_u32_e64 v13, null, 0, v29, s19
	s_or_b32 s60, s60, exec_lo
	v_cmp_ge_u64_e64 s19, v[12:13], v[10:11]
	s_orn2_b32 s59, s19, exec_lo
.LBB12_483:                             ;   in Loop: Header=BB12_485 Depth=2
	s_or_b32 exec_lo, exec_lo, s62
	s_andn2_b32 s19, s56, exec_lo
	s_and_b32 s56, s60, exec_lo
	s_andn2_b32 s47, s47, exec_lo
	s_and_b32 s59, s59, exec_lo
	s_or_b32 s56, s19, s56
	s_or_b32 s47, s47, s59
.LBB12_484:                             ;   in Loop: Header=BB12_485 Depth=2
	s_or_b32 exec_lo, exec_lo, s58
	s_and_b32 s19, exec_lo, s47
	s_or_b32 s23, s19, s23
	s_andn2_b32 s19, s46, exec_lo
	s_and_b32 s46, s56, exec_lo
	s_or_b32 s46, s19, s46
	s_andn2_b32 exec_lo, exec_lo, s23
	s_cbranch_execz .LBB12_494
.LBB12_485:                             ;   Parent Loop BB12_77 Depth=1
                                        ; =>  This Inner Loop Header: Depth=2
	s_sleep 1
	s_waitcnt vmcnt(0) lgkmcnt(0)
	flat_load_dwordx2 v[28:29], v[20:21] glc dlc
	s_or_b32 s56, s56, exec_lo
	s_or_b32 s47, s47, exec_lo
                                        ; implicit-def: $vgpr3
	s_and_saveexec_b32 s58, vcc_lo
	s_cbranch_execz .LBB12_484
; %bb.486:                              ;   in Loop: Header=BB12_485 Depth=2
	s_cmpk_lt_i32 s57, 0x270f
	s_mov_b32 s59, -1
	s_cselect_b32 s61, -1, 0
	s_cmpk_gt_i32 s57, 0x270e
	s_cbranch_scc0 .LBB12_488
; %bb.487:                              ;   in Loop: Header=BB12_485 Depth=2
	s_trap 2
	ds_read_b64 v[12:13], v0
	s_andn2_b32 s57, s61, exec_lo
	s_mov_b32 s60, 0
	s_waitcnt vmcnt(0) lgkmcnt(0)
	s_waitcnt_vscnt null, 0x0
	flat_load_dword v3, v[12:13] glc dlc
	s_waitcnt vmcnt(0) lgkmcnt(0)
	buffer_gl1_inv
	buffer_gl0_inv
	v_cmp_eq_u32_e64 s19, 0, v3
	s_and_b32 s19, s19, exec_lo
	s_or_b32 s61, s57, s19
	s_mov_b32 s57, 0
	s_and_saveexec_b32 s62, s61
	s_cbranch_execz .LBB12_483
	s_branch .LBB12_482
.LBB12_488:                             ;   in Loop: Header=BB12_485 Depth=2
	s_add_i32 s57, s57, 1
	s_mov_b32 s60, -1
                                        ; implicit-def: $vgpr3
	s_and_saveexec_b32 s62, s61
	s_cbranch_execz .LBB12_483
	s_branch .LBB12_482
.LBB12_489:                             ;   in Loop: Header=BB12_77 Depth=1
	s_or_b32 exec_lo, exec_lo, s21
	s_and_saveexec_b32 s19, s7
	s_cbranch_execnz .LBB12_506
.LBB12_490:                             ;   in Loop: Header=BB12_77 Depth=1
	s_or_b32 exec_lo, exec_lo, s19
                                        ; implicit-def: $vgpr3
	s_and_saveexec_b32 s19, s15
	s_xor_b32 s21, exec_lo, s19
	s_cbranch_execz .LBB12_543
.LBB12_491:                             ;   in Loop: Header=BB12_77 Depth=1
	s_trap 2
	ds_read_b32 v3, v0
	v_cmp_lt_i32_e32 vcc_lo, 0, v2
	s_waitcnt lgkmcnt(0)
	v_readfirstlane_b32 s19, v3
	v_and_b32_e32 v3, 16, v52
	s_cmp_eq_u32 s19, 0
	v_cmp_ne_u32_e64 s19, 0, v3
	s_cselect_b32 s22, -1, 0
	v_and_b32_e32 v3, 16, v52
	s_and_b32 s22, vcc_lo, s22
	s_and_b32 s22, s19, s22
	s_and_saveexec_b32 s19, s22
	s_cbranch_execz .LBB12_493
; %bb.492:                              ;   in Loop: Header=BB12_77 Depth=1
	v_mov_b32_e32 v3, 1
	s_waitcnt vmcnt(0)
	s_waitcnt_vscnt null, 0x0
	buffer_gl1_inv
	buffer_gl0_inv
.LBB12_493:                             ;   in Loop: Header=BB12_77 Depth=1
	s_or_b32 exec_lo, exec_lo, s19
	s_andn2_saveexec_b32 s19, s21
	s_cbranch_execz .LBB12_611
	s_branch .LBB12_544
.LBB12_494:                             ;   in Loop: Header=BB12_77 Depth=1
	s_or_b32 exec_lo, exec_lo, s23
	s_xor_b32 s19, s46, -1
	s_and_saveexec_b32 s23, s19
	s_xor_b32 s19, exec_lo, s23
	s_cbranch_execz .LBB12_496
; %bb.495:                              ;   in Loop: Header=BB12_77 Depth=1
	v_or_b32_e32 v52, 64, v52
	s_waitcnt vmcnt(0) lgkmcnt(0)
	s_waitcnt_vscnt null, 0x0
	ds_write_b32 v0, v3
	s_trap 2
.LBB12_496:                             ;   in Loop: Header=BB12_77 Depth=1
	s_or_b32 exec_lo, exec_lo, s19
.LBB12_497:                             ;   in Loop: Header=BB12_77 Depth=1
	s_or_b32 exec_lo, exec_lo, s22
	v_and_b32_e32 v3, 0x100, v52
	v_and_b32_e32 v36, 7, v8
	s_mov_b32 s19, -1
	s_mov_b32 s22, exec_lo
	;;#ASMSTART
	s_wakeup
	;;#ASMEND
                                        ; implicit-def: $vgpr8_vgpr9
	v_cmpx_ne_u32_e32 0, v3
	s_cbranch_execz .LBB12_501
; %bb.498:                              ;   in Loop: Header=BB12_77 Depth=1
	v_mad_u64_u32 v[12:13], null, v36, 24, v[6:7]
	v_ashrrev_i32_e32 v3, 31, v2
	flat_load_dword v8, v[12:13]
	flat_store_dwordx2 v[12:13], v[2:3] offset:8
	s_waitcnt vmcnt(0) lgkmcnt(1)
	v_cmp_eq_u32_e64 s19, 1, v8
	v_cmp_ne_u32_e32 vcc_lo, 1, v8
                                        ; implicit-def: $vgpr8_vgpr9
	s_and_saveexec_b32 s23, s19
	s_cbranch_execz .LBB12_500
; %bb.499:                              ;   in Loop: Header=BB12_77 Depth=1
	flat_load_dword v8, v[12:13] offset:4 glc dlc
	s_waitcnt vmcnt(0) lgkmcnt(0)
	v_ashrrev_i32_e32 v9, 31, v8
.LBB12_500:                             ;   in Loop: Header=BB12_77 Depth=1
	s_or_b32 exec_lo, exec_lo, s23
	s_orn2_b32 s19, vcc_lo, exec_lo
.LBB12_501:                             ;   in Loop: Header=BB12_77 Depth=1
	s_or_b32 exec_lo, exec_lo, s22
	s_and_saveexec_b32 s22, s19
; %bb.502:                              ;   in Loop: Header=BB12_77 Depth=1
	v_mad_i64_i32 v[8:9], null, v36, v53, 0
; %bb.503:                              ;   in Loop: Header=BB12_77 Depth=1
	s_or_b32 exec_lo, exec_lo, s22
	v_add_co_u32 v8, vcc_lo, v22, v8
	v_and_b32_e32 v3, 0x2000, v52
	v_add_co_ci_u32_e64 v9, null, v23, v9, vcc_lo
	s_mov_b32 s19, exec_lo
	ds_write_b64 v0, v[8:9] offset:792
	v_cmpx_ne_u32_e32 0, v3
	s_cbranch_execz .LBB12_505
; %bb.504:                              ;   in Loop: Header=BB12_77 Depth=1
	ds_read_b64 v[8:9], v0 offset:872
	s_waitcnt lgkmcnt(0)
	v_add_co_u32 v8, vcc_lo, v8, 1
	v_add_co_ci_u32_e64 v9, null, 0, v9, vcc_lo
	ds_write_b64 v0, v[8:9] offset:872
.LBB12_505:                             ;   in Loop: Header=BB12_77 Depth=1
	s_or_b32 exec_lo, exec_lo, s19
	v_mov_b32_e32 v8, v10
	v_mov_b32_e32 v9, v11
	s_or_b32 exec_lo, exec_lo, s21
	s_and_saveexec_b32 s19, s7
	s_cbranch_execz .LBB12_490
.LBB12_506:                             ;   in Loop: Header=BB12_77 Depth=1
	s_and_saveexec_b32 s21, s27
	s_xor_b32 s21, exec_lo, s21
	s_cbranch_execz .LBB12_540
; %bb.507:                              ;   in Loop: Header=BB12_77 Depth=1
	s_and_saveexec_b32 s22, s12
	s_cbranch_execz .LBB12_539
; %bb.508:                              ;   in Loop: Header=BB12_77 Depth=1
	s_mov_b32 s46, exec_lo
	s_mov_b32 s23, exec_lo
	v_mbcnt_lo_u32_b32 v3, s46, 0
	s_waitcnt vmcnt(0) lgkmcnt(0)
	s_waitcnt_vscnt null, 0x0
	buffer_gl1_inv
	buffer_gl0_inv
	v_cmpx_eq_u32_e32 0, v3
	s_cbranch_execz .LBB12_510
; %bb.509:                              ;   in Loop: Header=BB12_77 Depth=1
	s_bcnt1_i32_b32 s46, s46
	v_mov_b32_e32 v11, v1
	v_mov_b32_e32 v10, s46
	ds_add_u64 v0, v[10:11]
	s_trap 2
.LBB12_510:                             ;   in Loop: Header=BB12_77 Depth=1
	s_or_b32 exec_lo, exec_lo, s23
	s_trap 2
	ds_read_b64 v[10:11], v0
	s_waitcnt lgkmcnt(0)
	buffer_gl0_inv
	v_add_co_u32 v24, vcc_lo, v24, v55
	v_add_co_ci_u32_e64 v25, null, 0, v25, vcc_lo
	s_mov_b32 s23, exec_lo
	v_cmpx_lt_u64_e64 v[10:11], v[24:25]
	s_cbranch_execz .LBB12_538
; %bb.511:                              ;   in Loop: Header=BB12_77 Depth=1
	s_mov_b32 s46, 0
	s_mov_b32 s57, 0
                                        ; implicit-def: $sgpr47
                                        ; implicit-def: $sgpr56
	s_inst_prefetch 0x1
	s_branch .LBB12_513
	.p2align	6
.LBB12_512:                             ;   in Loop: Header=BB12_513 Depth=2
	s_or_b32 exec_lo, exec_lo, s59
	s_and_b32 s58, exec_lo, s60
	s_or_b32 s46, s58, s46
	s_andn2_b32 s47, s47, exec_lo
	s_and_b32 s58, s56, exec_lo
	s_or_b32 s47, s47, s58
	s_andn2_b32 exec_lo, exec_lo, s46
	s_cbranch_execz .LBB12_536
.LBB12_513:                             ;   Parent Loop BB12_77 Depth=1
                                        ; =>  This Inner Loop Header: Depth=2
	s_add_i32 s57, s57, 1
	s_cmpk_lg_i32 s57, 0x2710
	s_cselect_b32 s58, -1, 0
	s_and_b32 vcc_lo, exec_lo, s58
	s_cbranch_vccz .LBB12_515
; %bb.514:                              ;   in Loop: Header=BB12_513 Depth=2
	s_mov_b32 s60, -1
	s_or_b32 s56, s56, exec_lo
	s_and_saveexec_b32 s59, s58
	s_cbranch_execz .LBB12_512
	s_branch .LBB12_516
	.p2align	6
.LBB12_515:                             ;   in Loop: Header=BB12_513 Depth=2
	s_trap 2
	ds_read_b64 v[10:11], v0
	s_andn2_b32 s58, s58, exec_lo
	s_mov_b32 s57, 0
	s_waitcnt lgkmcnt(0)
	flat_load_dword v3, v[10:11] glc dlc
	s_waitcnt vmcnt(0) lgkmcnt(0)
	buffer_gl1_inv
	buffer_gl0_inv
	v_cmp_eq_u32_e32 vcc_lo, 0, v3
	s_and_b32 s59, vcc_lo, exec_lo
	s_or_b32 s58, s58, s59
	s_mov_b32 s60, -1
	s_or_b32 s56, s56, exec_lo
	s_and_saveexec_b32 s59, s58
	s_cbranch_execz .LBB12_512
.LBB12_516:                             ;   in Loop: Header=BB12_513 Depth=2
	s_sleep 1
	s_trap 2
	ds_read_b64 v[10:11], v0
	s_waitcnt lgkmcnt(0)
	buffer_gl0_inv
	s_andn2_b32 s56, s56, exec_lo
	v_cmp_ge_u64_e32 vcc_lo, v[10:11], v[24:25]
	s_orn2_b32 s60, vcc_lo, exec_lo
	s_branch .LBB12_512
.LBB12_517:                             ;   in Loop: Header=BB12_77 Depth=1
	s_inst_prefetch 0x2
	s_or_b32 exec_lo, exec_lo, s45
	s_and_saveexec_b32 s45, s46
	s_xor_b32 s45, exec_lo, s45
	s_cbranch_execz .LBB12_519
; %bb.518:                              ;   in Loop: Header=BB12_77 Depth=1
	ds_write_b32 v0, v66
	s_trap 2
.LBB12_519:                             ;   in Loop: Header=BB12_77 Depth=1
	s_or_b32 exec_lo, exec_lo, s23
	;;#ASMSTART
	s_wakeup
	;;#ASMEND
.LBB12_520:                             ;   in Loop: Header=BB12_77 Depth=1
	s_or_b32 exec_lo, exec_lo, s22
.LBB12_521:                             ;   in Loop: Header=BB12_77 Depth=1
	s_andn2_saveexec_b32 s21, s21
	s_cbranch_execz .LBB12_523
; %bb.522:                              ;   in Loop: Header=BB12_77 Depth=1
	s_waitcnt vmcnt(0) lgkmcnt(0)
	s_waitcnt_vscnt null, 0x0
	buffer_gl1_inv
	buffer_gl0_inv
	s_barrier
.LBB12_523:                             ;   in Loop: Header=BB12_77 Depth=1
	s_or_b32 exec_lo, exec_lo, s21
	s_or_b32 exec_lo, exec_lo, s19
                                        ; implicit-def: $vgpr3
	s_and_saveexec_b32 s19, s15
	s_xor_b32 s21, exec_lo, s19
	s_cbranch_execnz .LBB12_436
.LBB12_524:                             ;   in Loop: Header=BB12_77 Depth=1
	s_andn2_saveexec_b32 s19, s21
	s_cbranch_execz .LBB12_562
.LBB12_525:                             ;   in Loop: Header=BB12_77 Depth=1
	s_and_saveexec_b32 s21, s27
	s_xor_b32 s21, exec_lo, s21
	s_cbranch_execz .LBB12_559
; %bb.526:                              ;   in Loop: Header=BB12_77 Depth=1
	s_and_saveexec_b32 s22, s12
	s_cbranch_execz .LBB12_558
; %bb.527:                              ;   in Loop: Header=BB12_77 Depth=1
	s_mov_b32 s45, exec_lo
	s_mov_b32 s23, exec_lo
	v_mbcnt_lo_u32_b32 v2, s45, 0
	;;#ASMSTART
	s_waitcnt lgkmcnt(0) vmcnt(0)
	;;#ASMEND
	v_cmpx_eq_u32_e32 0, v2
	s_cbranch_execz .LBB12_529
; %bb.528:                              ;   in Loop: Header=BB12_77 Depth=1
	s_bcnt1_i32_b32 s45, s45
	v_mov_b32_e32 v3, v1
	v_mov_b32_e32 v2, s45
	s_waitcnt vmcnt(0) lgkmcnt(0)
	s_waitcnt_vscnt null, 0x0
	ds_add_u64 v0, v[2:3]
	s_trap 2
.LBB12_529:                             ;   in Loop: Header=BB12_77 Depth=1
	s_or_b32 exec_lo, exec_lo, s23
	s_trap 2
	ds_read_b64 v[2:3], v0
	s_waitcnt vmcnt(0) lgkmcnt(0)
	buffer_gl0_inv
	v_add_co_u32 v24, vcc_lo, v24, v55
	v_add_co_ci_u32_e64 v25, null, 0, v25, vcc_lo
	s_mov_b32 s23, exec_lo
	v_cmpx_lt_u64_e64 v[2:3], v[24:25]
	s_cbranch_execz .LBB12_557
; %bb.530:                              ;   in Loop: Header=BB12_77 Depth=1
	s_mov_b32 s45, 0
	s_mov_b32 s56, 0
                                        ; implicit-def: $sgpr46
                                        ; implicit-def: $sgpr47
	s_inst_prefetch 0x1
	s_branch .LBB12_532
	.p2align	6
.LBB12_531:                             ;   in Loop: Header=BB12_532 Depth=2
	s_or_b32 exec_lo, exec_lo, s58
	s_and_b32 s57, exec_lo, s59
	s_or_b32 s45, s57, s45
	s_andn2_b32 s46, s46, exec_lo
	s_and_b32 s57, s47, exec_lo
	s_or_b32 s46, s46, s57
	s_andn2_b32 exec_lo, exec_lo, s45
	s_cbranch_execz .LBB12_555
.LBB12_532:                             ;   Parent Loop BB12_77 Depth=1
                                        ; =>  This Inner Loop Header: Depth=2
	s_add_i32 s56, s56, 1
	s_cmpk_lg_i32 s56, 0x2710
	s_cselect_b32 s57, -1, 0
	s_and_b32 vcc_lo, exec_lo, s57
	s_cbranch_vccz .LBB12_534
; %bb.533:                              ;   in Loop: Header=BB12_532 Depth=2
	s_mov_b32 s59, -1
	s_or_b32 s47, s47, exec_lo
	s_and_saveexec_b32 s58, s57
	s_cbranch_execz .LBB12_531
	s_branch .LBB12_535
	.p2align	6
.LBB12_534:                             ;   in Loop: Header=BB12_532 Depth=2
	s_trap 2
	ds_read_b64 v[2:3], v0
	s_andn2_b32 s57, s57, exec_lo
	s_mov_b32 s56, 0
	s_waitcnt lgkmcnt(0)
	s_waitcnt_vscnt null, 0x0
	flat_load_dword v2, v[2:3] glc dlc
	s_waitcnt vmcnt(0) lgkmcnt(0)
	buffer_gl1_inv
	buffer_gl0_inv
	v_cmp_eq_u32_e32 vcc_lo, 0, v2
	s_and_b32 s58, vcc_lo, exec_lo
	s_or_b32 s57, s57, s58
	s_mov_b32 s59, -1
	s_or_b32 s47, s47, exec_lo
	s_and_saveexec_b32 s58, s57
	s_cbranch_execz .LBB12_531
.LBB12_535:                             ;   in Loop: Header=BB12_532 Depth=2
	s_sleep 1
	s_trap 2
	ds_read_b64 v[2:3], v0
	s_waitcnt lgkmcnt(0)
	buffer_gl0_inv
	s_andn2_b32 s47, s47, exec_lo
	v_cmp_ge_u64_e32 vcc_lo, v[2:3], v[24:25]
	s_orn2_b32 s59, vcc_lo, exec_lo
	s_branch .LBB12_531
.LBB12_536:                             ;   in Loop: Header=BB12_77 Depth=1
	s_inst_prefetch 0x2
	s_or_b32 exec_lo, exec_lo, s46
	s_and_saveexec_b32 s46, s47
	s_xor_b32 s46, exec_lo, s46
	s_cbranch_execz .LBB12_538
; %bb.537:                              ;   in Loop: Header=BB12_77 Depth=1
	ds_write_b32 v0, v66
	s_trap 2
.LBB12_538:                             ;   in Loop: Header=BB12_77 Depth=1
	s_or_b32 exec_lo, exec_lo, s23
	;;#ASMSTART
	s_wakeup
	;;#ASMEND
.LBB12_539:                             ;   in Loop: Header=BB12_77 Depth=1
	s_or_b32 exec_lo, exec_lo, s22
.LBB12_540:                             ;   in Loop: Header=BB12_77 Depth=1
	s_andn2_saveexec_b32 s21, s21
	s_cbranch_execz .LBB12_542
; %bb.541:                              ;   in Loop: Header=BB12_77 Depth=1
	s_waitcnt vmcnt(0) lgkmcnt(0)
	s_waitcnt_vscnt null, 0x0
	buffer_gl1_inv
	buffer_gl0_inv
	s_barrier
.LBB12_542:                             ;   in Loop: Header=BB12_77 Depth=1
	s_or_b32 exec_lo, exec_lo, s21
	s_or_b32 exec_lo, exec_lo, s19
                                        ; implicit-def: $vgpr3
	s_and_saveexec_b32 s19, s15
	s_xor_b32 s21, exec_lo, s19
	s_cbranch_execnz .LBB12_491
.LBB12_543:                             ;   in Loop: Header=BB12_77 Depth=1
	s_andn2_saveexec_b32 s19, s21
	s_cbranch_execz .LBB12_611
.LBB12_544:                             ;   in Loop: Header=BB12_77 Depth=1
	s_and_saveexec_b32 s21, s27
	s_xor_b32 s21, exec_lo, s21
	s_cbranch_execz .LBB12_608
; %bb.545:                              ;   in Loop: Header=BB12_77 Depth=1
	s_and_saveexec_b32 s22, s12
	s_cbranch_execz .LBB12_607
; %bb.546:                              ;   in Loop: Header=BB12_77 Depth=1
	s_mov_b32 s46, exec_lo
	s_mov_b32 s23, exec_lo
	v_mbcnt_lo_u32_b32 v2, s46, 0
	;;#ASMSTART
	s_waitcnt lgkmcnt(0) vmcnt(0)
	;;#ASMEND
	v_cmpx_eq_u32_e32 0, v2
	s_cbranch_execz .LBB12_548
; %bb.547:                              ;   in Loop: Header=BB12_77 Depth=1
	s_bcnt1_i32_b32 s46, s46
	v_mov_b32_e32 v3, v1
	v_mov_b32_e32 v2, s46
	s_waitcnt vmcnt(0) lgkmcnt(0)
	s_waitcnt_vscnt null, 0x0
	ds_add_u64 v0, v[2:3]
	s_trap 2
.LBB12_548:                             ;   in Loop: Header=BB12_77 Depth=1
	s_or_b32 exec_lo, exec_lo, s23
	s_trap 2
	ds_read_b64 v[2:3], v0
	s_waitcnt vmcnt(0) lgkmcnt(0)
	buffer_gl0_inv
	v_add_co_u32 v24, vcc_lo, v24, v55
	v_add_co_ci_u32_e64 v25, null, 0, v25, vcc_lo
	s_mov_b32 s23, exec_lo
	v_cmpx_lt_u64_e64 v[2:3], v[24:25]
	s_cbranch_execz .LBB12_606
; %bb.549:                              ;   in Loop: Header=BB12_77 Depth=1
	s_mov_b32 s46, 0
	s_mov_b32 s57, 0
                                        ; implicit-def: $sgpr47
                                        ; implicit-def: $sgpr56
	s_inst_prefetch 0x1
	s_branch .LBB12_551
	.p2align	6
.LBB12_550:                             ;   in Loop: Header=BB12_551 Depth=2
	s_or_b32 exec_lo, exec_lo, s59
	s_and_b32 s58, exec_lo, s60
	s_or_b32 s46, s58, s46
	s_andn2_b32 s47, s47, exec_lo
	s_and_b32 s58, s56, exec_lo
	s_or_b32 s47, s47, s58
	s_andn2_b32 exec_lo, exec_lo, s46
	s_cbranch_execz .LBB12_604
.LBB12_551:                             ;   Parent Loop BB12_77 Depth=1
                                        ; =>  This Inner Loop Header: Depth=2
	s_add_i32 s57, s57, 1
	s_cmpk_lg_i32 s57, 0x2710
	s_cselect_b32 s58, -1, 0
	s_and_b32 vcc_lo, exec_lo, s58
	s_cbranch_vccz .LBB12_553
; %bb.552:                              ;   in Loop: Header=BB12_551 Depth=2
	s_mov_b32 s60, -1
	s_or_b32 s56, s56, exec_lo
	s_and_saveexec_b32 s59, s58
	s_cbranch_execz .LBB12_550
	s_branch .LBB12_554
	.p2align	6
.LBB12_553:                             ;   in Loop: Header=BB12_551 Depth=2
	s_trap 2
	ds_read_b64 v[2:3], v0
	s_andn2_b32 s58, s58, exec_lo
	s_mov_b32 s57, 0
	s_waitcnt lgkmcnt(0)
	s_waitcnt_vscnt null, 0x0
	flat_load_dword v2, v[2:3] glc dlc
	s_waitcnt vmcnt(0) lgkmcnt(0)
	buffer_gl1_inv
	buffer_gl0_inv
	v_cmp_eq_u32_e32 vcc_lo, 0, v2
	s_and_b32 s59, vcc_lo, exec_lo
	s_or_b32 s58, s58, s59
	s_mov_b32 s60, -1
	s_or_b32 s56, s56, exec_lo
	s_and_saveexec_b32 s59, s58
	s_cbranch_execz .LBB12_550
.LBB12_554:                             ;   in Loop: Header=BB12_551 Depth=2
	s_sleep 1
	s_trap 2
	ds_read_b64 v[2:3], v0
	s_waitcnt lgkmcnt(0)
	buffer_gl0_inv
	s_andn2_b32 s56, s56, exec_lo
	v_cmp_ge_u64_e32 vcc_lo, v[2:3], v[24:25]
	s_orn2_b32 s60, vcc_lo, exec_lo
	s_branch .LBB12_550
.LBB12_555:                             ;   in Loop: Header=BB12_77 Depth=1
	s_inst_prefetch 0x2
	s_or_b32 exec_lo, exec_lo, s45
	s_and_saveexec_b32 s45, s46
	s_xor_b32 s45, exec_lo, s45
	s_cbranch_execz .LBB12_557
; %bb.556:                              ;   in Loop: Header=BB12_77 Depth=1
	ds_write_b32 v0, v66
	s_trap 2
.LBB12_557:                             ;   in Loop: Header=BB12_77 Depth=1
	s_or_b32 exec_lo, exec_lo, s23
	;;#ASMSTART
	s_wakeup
	;;#ASMEND
.LBB12_558:                             ;   in Loop: Header=BB12_77 Depth=1
	s_or_b32 exec_lo, exec_lo, s22
.LBB12_559:                             ;   in Loop: Header=BB12_77 Depth=1
	s_andn2_saveexec_b32 s21, s21
	s_cbranch_execz .LBB12_561
; %bb.560:                              ;   in Loop: Header=BB12_77 Depth=1
	;;#ASMSTART
	s_waitcnt lgkmcnt(0) vmcnt(0)
	;;#ASMEND
	s_barrier
.LBB12_561:                             ;   in Loop: Header=BB12_77 Depth=1
	s_or_b32 exec_lo, exec_lo, s21
	v_and_b32_e32 v3, 16, v52
.LBB12_562:                             ;   in Loop: Header=BB12_77 Depth=1
	s_or_b32 exec_lo, exec_lo, s19
	v_cmp_ne_u32_e32 vcc_lo, 0, v3
	s_xor_b32 s19, s10, -1
	s_and_b32 s21, vcc_lo, s19
	s_and_saveexec_b32 s19, s21
	s_cbranch_execz .LBB12_564
; %bb.563:                              ;   in Loop: Header=BB12_77 Depth=1
	s_waitcnt vmcnt(0) lgkmcnt(0)
	s_waitcnt_vscnt null, 0x0
	flat_store_dword v[26:27], v66
.LBB12_564:                             ;   in Loop: Header=BB12_77 Depth=1
	s_or_b32 exec_lo, exec_lo, s19
	v_and_b32_e32 v2, 48, v52
	v_cmp_ne_u32_e32 vcc_lo, 0, v2
	s_and_b32 s19, vcc_lo, exec_lo
.LBB12_565:                             ;   in Loop: Header=BB12_77 Depth=1
	s_or_b32 exec_lo, exec_lo, s20
	s_and_b32 s21, s19, exec_lo
                                        ; implicit-def: $vgpr36
                                        ; implicit-def: $vgpr102
                                        ; implicit-def: $vgpr2
                                        ; implicit-def: $vgpr3
.LBB12_566:                             ;   in Loop: Header=BB12_77 Depth=1
	s_andn2_saveexec_b32 s22, s43
	s_cbranch_execz .LBB12_996
; %bb.567:                              ;   in Loop: Header=BB12_77 Depth=1
	v_mov_b32_e32 v12, 0
	s_and_saveexec_b32 s23, s18
	s_cbranch_execz .LBB12_845
; %bb.568:                              ;   in Loop: Header=BB12_77 Depth=1
	s_and_saveexec_b32 s20, s4
	s_cbranch_execz .LBB12_570
; %bb.569:                              ;   in Loop: Header=BB12_77 Depth=1
	s_trap 2
	ds_read_b128 v[10:13], v0
	s_waitcnt lgkmcnt(0)
	v_add_co_u32 v37, vcc_lo, v12, v2
	v_add_co_ci_u32_e64 v38, null, v13, v3, vcc_lo
	v_cmp_ne_u64_e32 vcc_lo, 0, v[12:13]
	v_add_co_u32 v2, s19, v10, v2
	v_add_co_ci_u32_e64 v3, null, v11, v3, s19
	v_cndmask_b32_e32 v11, 0, v38, vcc_lo
	v_cndmask_b32_e32 v10, 0, v37, vcc_lo
	ds_write_b64 v0, v[2:3]
	ds_write_b64 v0, v[10:11]
.LBB12_570:                             ;   in Loop: Header=BB12_77 Depth=1
	s_or_b32 exec_lo, exec_lo, s20
	v_and_b32_e32 v2, 4, v52
	s_mov_b32 s20, exec_lo
	v_cmpx_ne_u32_e32 0, v2
	s_cbranch_execz .LBB12_592
; %bb.571:                              ;   in Loop: Header=BB12_77 Depth=1
	v_add_co_u32 v2, vcc_lo, v8, 1
	v_add_co_ci_u32_e64 v3, null, 0, v9, vcc_lo
	s_mov_b32 s43, exec_lo
	s_waitcnt vmcnt(0) lgkmcnt(1)
	v_cmpx_lt_u64_e64 v[28:29], v[2:3]
	s_cbranch_execz .LBB12_583
; %bb.572:                              ;   in Loop: Header=BB12_77 Depth=1
	v_and_b32_e32 v9, 64, v52
	s_mov_b32 s45, 0
	s_mov_b32 s57, 0
                                        ; implicit-def: $sgpr46
                                        ; implicit-def: $sgpr47
                                        ; implicit-def: $sgpr56
	v_cmp_eq_u32_e32 vcc_lo, 0, v9
	s_branch .LBB12_576
.LBB12_573:                             ;   in Loop: Header=BB12_576 Depth=2
	s_waitcnt vmcnt(0) lgkmcnt(0)
	v_cmp_ge_u64_e64 s19, v[28:29], v[2:3]
	s_or_b32 s60, s60, exec_lo
	s_orn2_b32 s59, s19, exec_lo
.LBB12_574:                             ;   in Loop: Header=BB12_576 Depth=2
	s_or_b32 exec_lo, exec_lo, s62
	s_andn2_b32 s19, s56, exec_lo
	s_and_b32 s56, s60, exec_lo
	s_andn2_b32 s47, s47, exec_lo
	s_and_b32 s59, s59, exec_lo
	s_or_b32 s56, s19, s56
	s_or_b32 s47, s47, s59
.LBB12_575:                             ;   in Loop: Header=BB12_576 Depth=2
	s_or_b32 exec_lo, exec_lo, s58
	s_and_b32 s19, exec_lo, s47
	s_or_b32 s45, s19, s45
	s_andn2_b32 s19, s46, exec_lo
	s_and_b32 s46, s56, exec_lo
	s_or_b32 s46, s19, s46
	s_andn2_b32 exec_lo, exec_lo, s45
	s_cbranch_execz .LBB12_580
.LBB12_576:                             ;   Parent Loop BB12_77 Depth=1
                                        ; =>  This Inner Loop Header: Depth=2
	s_sleep 1
	s_waitcnt vmcnt(0) lgkmcnt(0)
	flat_load_dwordx2 v[28:29], v[20:21] glc dlc
	s_or_b32 s56, s56, exec_lo
	s_or_b32 s47, s47, exec_lo
                                        ; implicit-def: $vgpr9
	s_and_saveexec_b32 s58, vcc_lo
	s_cbranch_execz .LBB12_575
; %bb.577:                              ;   in Loop: Header=BB12_576 Depth=2
	s_cmpk_lt_i32 s57, 0x270f
	s_mov_b32 s59, -1
	s_cselect_b32 s61, -1, 0
	s_cmpk_gt_i32 s57, 0x270e
	s_cbranch_scc0 .LBB12_579
; %bb.578:                              ;   in Loop: Header=BB12_576 Depth=2
	s_trap 2
	ds_read_b64 v[9:10], v0
	s_andn2_b32 s57, s61, exec_lo
	s_mov_b32 s60, 0
	s_waitcnt vmcnt(0) lgkmcnt(0)
	s_waitcnt_vscnt null, 0x0
	flat_load_dword v9, v[9:10] glc dlc
	s_waitcnt vmcnt(0) lgkmcnt(0)
	buffer_gl1_inv
	buffer_gl0_inv
	v_cmp_eq_u32_e64 s19, 0, v9
	s_and_b32 s19, s19, exec_lo
	s_or_b32 s61, s57, s19
	s_mov_b32 s57, 0
	s_and_saveexec_b32 s62, s61
	s_cbranch_execz .LBB12_574
	s_branch .LBB12_573
.LBB12_579:                             ;   in Loop: Header=BB12_576 Depth=2
	s_add_i32 s57, s57, 1
	s_mov_b32 s60, -1
                                        ; implicit-def: $vgpr9
	s_and_saveexec_b32 s62, s61
	s_cbranch_execz .LBB12_574
	s_branch .LBB12_573
.LBB12_580:                             ;   in Loop: Header=BB12_77 Depth=1
	s_or_b32 exec_lo, exec_lo, s45
	s_xor_b32 s19, s46, -1
	s_and_saveexec_b32 s45, s19
	s_xor_b32 s19, exec_lo, s45
	s_cbranch_execz .LBB12_582
; %bb.581:                              ;   in Loop: Header=BB12_77 Depth=1
	v_or_b32_e32 v52, 64, v52
	s_waitcnt vmcnt(0) lgkmcnt(0)
	s_waitcnt_vscnt null, 0x0
	ds_write_b32 v0, v9
	s_trap 2
.LBB12_582:                             ;   in Loop: Header=BB12_77 Depth=1
	s_or_b32 exec_lo, exec_lo, s19
.LBB12_583:                             ;   in Loop: Header=BB12_77 Depth=1
	s_or_b32 exec_lo, exec_lo, s43
	v_and_b32_e32 v9, 0x100, v52
	v_and_b32_e32 v12, 7, v8
	s_mov_b32 s19, -1
	;;#ASMSTART
	s_wakeup
	;;#ASMEND
	v_cmp_ne_u32_e32 vcc_lo, 0, v9
                                        ; implicit-def: $vgpr8_vgpr9
	s_and_saveexec_b32 s43, vcc_lo
	s_cbranch_execz .LBB12_587
; %bb.584:                              ;   in Loop: Header=BB12_77 Depth=1
	v_mad_u64_u32 v[10:11], null, v12, 24, v[6:7]
	flat_load_dword v8, v[10:11]
	s_waitcnt vmcnt(0) lgkmcnt(0)
	v_cmp_eq_u32_e64 s19, 1, v8
	v_cmp_ne_u32_e32 vcc_lo, 1, v8
                                        ; implicit-def: $vgpr8_vgpr9
	s_and_saveexec_b32 s45, s19
	s_cbranch_execz .LBB12_586
; %bb.585:                              ;   in Loop: Header=BB12_77 Depth=1
	flat_load_dword v8, v[10:11] offset:4 glc dlc
	s_waitcnt vmcnt(0) lgkmcnt(0)
	v_ashrrev_i32_e32 v9, 31, v8
.LBB12_586:                             ;   in Loop: Header=BB12_77 Depth=1
	s_or_b32 exec_lo, exec_lo, s45
	s_orn2_b32 s19, vcc_lo, exec_lo
.LBB12_587:                             ;   in Loop: Header=BB12_77 Depth=1
	s_or_b32 exec_lo, exec_lo, s43
	s_and_saveexec_b32 s43, s19
; %bb.588:                              ;   in Loop: Header=BB12_77 Depth=1
	v_mad_i64_i32 v[8:9], null, v12, v53, 0
; %bb.589:                              ;   in Loop: Header=BB12_77 Depth=1
	s_or_b32 exec_lo, exec_lo, s43
	v_add_co_u32 v8, vcc_lo, v22, v8
	v_and_b32_e32 v10, 0x2000, v52
	v_add_co_ci_u32_e64 v9, null, v23, v9, vcc_lo
	s_mov_b32 s19, exec_lo
	ds_write_b64 v0, v[8:9] offset:720
	v_cmpx_ne_u32_e32 0, v10
	s_cbranch_execz .LBB12_591
; %bb.590:                              ;   in Loop: Header=BB12_77 Depth=1
	ds_read_b64 v[8:9], v0 offset:872
	s_waitcnt lgkmcnt(0)
	v_add_co_u32 v8, vcc_lo, v8, 1
	v_add_co_ci_u32_e64 v9, null, 0, v9, vcc_lo
	ds_write_b64 v0, v[8:9] offset:872
.LBB12_591:                             ;   in Loop: Header=BB12_77 Depth=1
	s_or_b32 exec_lo, exec_lo, s19
	v_mov_b32_e32 v9, v3
	v_mov_b32_e32 v8, v2
.LBB12_592:                             ;   in Loop: Header=BB12_77 Depth=1
	s_or_b32 exec_lo, exec_lo, s20
	s_and_saveexec_b32 s19, s7
	s_cbranch_execz .LBB12_660
; %bb.593:                              ;   in Loop: Header=BB12_77 Depth=1
	s_and_saveexec_b32 s20, s27
	s_xor_b32 s20, exec_lo, s20
	s_cbranch_execz .LBB12_657
; %bb.594:                              ;   in Loop: Header=BB12_77 Depth=1
	s_and_saveexec_b32 s43, s12
	s_cbranch_execz .LBB12_656
; %bb.595:                              ;   in Loop: Header=BB12_77 Depth=1
	s_mov_b32 s46, exec_lo
	s_mov_b32 s45, exec_lo
	v_mbcnt_lo_u32_b32 v2, s46, 0
	s_waitcnt vmcnt(0) lgkmcnt(0)
	s_waitcnt_vscnt null, 0x0
	buffer_gl1_inv
	buffer_gl0_inv
	v_cmpx_eq_u32_e32 0, v2
	s_cbranch_execz .LBB12_597
; %bb.596:                              ;   in Loop: Header=BB12_77 Depth=1
	s_bcnt1_i32_b32 s46, s46
	v_mov_b32_e32 v3, v1
	v_mov_b32_e32 v2, s46
	ds_add_u64 v0, v[2:3]
	s_trap 2
.LBB12_597:                             ;   in Loop: Header=BB12_77 Depth=1
	s_or_b32 exec_lo, exec_lo, s45
	s_trap 2
	ds_read_b64 v[2:3], v0
	s_waitcnt lgkmcnt(0)
	buffer_gl0_inv
	v_add_co_u32 v24, vcc_lo, v24, v55
	v_add_co_ci_u32_e64 v25, null, 0, v25, vcc_lo
	s_mov_b32 s45, exec_lo
	v_cmpx_lt_u64_e64 v[2:3], v[24:25]
	s_cbranch_execz .LBB12_655
; %bb.598:                              ;   in Loop: Header=BB12_77 Depth=1
	s_mov_b32 s46, 0
	s_mov_b32 s57, 0
                                        ; implicit-def: $sgpr47
                                        ; implicit-def: $sgpr56
	s_inst_prefetch 0x1
	s_branch .LBB12_600
	.p2align	6
.LBB12_599:                             ;   in Loop: Header=BB12_600 Depth=2
	s_or_b32 exec_lo, exec_lo, s59
	s_and_b32 s58, exec_lo, s60
	s_or_b32 s46, s58, s46
	s_andn2_b32 s47, s47, exec_lo
	s_and_b32 s58, s56, exec_lo
	s_or_b32 s47, s47, s58
	s_andn2_b32 exec_lo, exec_lo, s46
	s_cbranch_execz .LBB12_653
.LBB12_600:                             ;   Parent Loop BB12_77 Depth=1
                                        ; =>  This Inner Loop Header: Depth=2
	s_add_i32 s57, s57, 1
	s_cmpk_lg_i32 s57, 0x2710
	s_cselect_b32 s58, -1, 0
	s_and_b32 vcc_lo, exec_lo, s58
	s_cbranch_vccz .LBB12_602
; %bb.601:                              ;   in Loop: Header=BB12_600 Depth=2
	s_mov_b32 s60, -1
	s_or_b32 s56, s56, exec_lo
	s_and_saveexec_b32 s59, s58
	s_cbranch_execz .LBB12_599
	s_branch .LBB12_603
	.p2align	6
.LBB12_602:                             ;   in Loop: Header=BB12_600 Depth=2
	s_trap 2
	ds_read_b64 v[2:3], v0
	s_andn2_b32 s58, s58, exec_lo
	s_mov_b32 s57, 0
	s_waitcnt lgkmcnt(0)
	flat_load_dword v2, v[2:3] glc dlc
	s_waitcnt vmcnt(0) lgkmcnt(0)
	buffer_gl1_inv
	buffer_gl0_inv
	v_cmp_eq_u32_e32 vcc_lo, 0, v2
	s_and_b32 s59, vcc_lo, exec_lo
	s_or_b32 s58, s58, s59
	s_mov_b32 s60, -1
	s_or_b32 s56, s56, exec_lo
	s_and_saveexec_b32 s59, s58
	s_cbranch_execz .LBB12_599
.LBB12_603:                             ;   in Loop: Header=BB12_600 Depth=2
	s_sleep 1
	s_trap 2
	ds_read_b64 v[2:3], v0
	s_waitcnt lgkmcnt(0)
	buffer_gl0_inv
	s_andn2_b32 s56, s56, exec_lo
	v_cmp_ge_u64_e32 vcc_lo, v[2:3], v[24:25]
	s_orn2_b32 s60, vcc_lo, exec_lo
	s_branch .LBB12_599
.LBB12_604:                             ;   in Loop: Header=BB12_77 Depth=1
	s_inst_prefetch 0x2
	s_or_b32 exec_lo, exec_lo, s46
	s_and_saveexec_b32 s46, s47
	s_xor_b32 s46, exec_lo, s46
	s_cbranch_execz .LBB12_606
; %bb.605:                              ;   in Loop: Header=BB12_77 Depth=1
	ds_write_b32 v0, v66
	s_trap 2
.LBB12_606:                             ;   in Loop: Header=BB12_77 Depth=1
	s_or_b32 exec_lo, exec_lo, s23
	;;#ASMSTART
	s_wakeup
	;;#ASMEND
.LBB12_607:                             ;   in Loop: Header=BB12_77 Depth=1
	s_or_b32 exec_lo, exec_lo, s22
.LBB12_608:                             ;   in Loop: Header=BB12_77 Depth=1
	s_andn2_saveexec_b32 s21, s21
	s_cbranch_execz .LBB12_610
; %bb.609:                              ;   in Loop: Header=BB12_77 Depth=1
	;;#ASMSTART
	s_waitcnt lgkmcnt(0) vmcnt(0)
	;;#ASMEND
	s_barrier
.LBB12_610:                             ;   in Loop: Header=BB12_77 Depth=1
	s_or_b32 exec_lo, exec_lo, s21
	v_and_b32_e32 v3, 16, v52
.LBB12_611:                             ;   in Loop: Header=BB12_77 Depth=1
	s_or_b32 exec_lo, exec_lo, s19
	s_mov_b32 s19, 0
	s_mov_b32 s21, s43
	s_mov_b32 s22, exec_lo
	v_cmpx_ne_u32_e32 0, v3
	s_xor_b32 s22, exec_lo, s22
; %bb.612:                              ;   in Loop: Header=BB12_77 Depth=1
	s_andn2_b32 s19, s43, exec_lo
	s_and_b32 s21, s10, exec_lo
	s_or_b32 s21, s19, s21
	s_and_b32 s19, s11, exec_lo
; %bb.613:                              ;   in Loop: Header=BB12_77 Depth=1
	s_or_b32 exec_lo, exec_lo, s22
	s_andn2_b32 s22, s43, exec_lo
	s_and_b32 s21, s21, exec_lo
	s_and_b32 s19, s19, exec_lo
	s_or_b32 s21, s22, s21
.LBB12_614:                             ;   in Loop: Header=BB12_77 Depth=1
	s_or_b32 exec_lo, exec_lo, s20
	s_andn2_b32 s20, s43, exec_lo
	s_and_b32 s21, s21, exec_lo
                                        ; implicit-def: $vgpr36
                                        ; implicit-def: $vgpr102
                                        ; implicit-def: $vgpr2
                                        ; implicit-def: $vgpr3
	s_or_b32 s20, s20, s21
	s_and_b32 s21, s19, exec_lo
.LBB12_615:                             ;   in Loop: Header=BB12_77 Depth=1
	s_andn2_saveexec_b32 s22, s45
	s_cbranch_execz .LBB12_984
; %bb.616:                              ;   in Loop: Header=BB12_77 Depth=1
	v_mov_b32_e32 v10, 0
	s_and_saveexec_b32 s23, s18
	s_cbranch_execz .LBB12_896
; %bb.617:                              ;   in Loop: Header=BB12_77 Depth=1
	s_and_saveexec_b32 s18, s4
	s_cbranch_execz .LBB12_619
; %bb.618:                              ;   in Loop: Header=BB12_77 Depth=1
	s_trap 2
	ds_read_b64 v[10:11], v0
	s_waitcnt lgkmcnt(0)
	v_add_co_u32 v10, vcc_lo, v10, v2
	v_add_co_ci_u32_e64 v11, null, v11, v3, vcc_lo
	v_mov_b32_e32 v2, v1
	ds_write_b64 v0, v[10:11]
	ds_write_b64 v0, v[1:2]
.LBB12_619:                             ;   in Loop: Header=BB12_77 Depth=1
	s_or_b32 exec_lo, exec_lo, s18
	v_and_b32_e32 v2, 8, v52
	v_min_i32_e32 v36, v36, v102
	s_mov_b32 s19, exec_lo
	v_cmpx_ne_u32_e32 0, v2
	s_cbranch_execz .LBB12_641
; %bb.620:                              ;   in Loop: Header=BB12_77 Depth=1
	s_waitcnt vmcnt(0) lgkmcnt(1)
	v_add_co_u32 v10, vcc_lo, v28, 8
	v_add_co_ci_u32_e64 v11, null, 0, v29, vcc_lo
	v_add_co_u32 v2, vcc_lo, v8, 1
	v_add_co_ci_u32_e64 v3, null, 0, v9, vcc_lo
	s_mov_b32 s45, exec_lo
	v_cmpx_lt_u64_e64 v[10:11], v[2:3]
	s_cbranch_execz .LBB12_632
; %bb.621:                              ;   in Loop: Header=BB12_77 Depth=1
	v_and_b32_e32 v9, 64, v52
	s_mov_b32 s46, 0
	s_mov_b32 s58, 0
                                        ; implicit-def: $sgpr47
                                        ; implicit-def: $sgpr56
                                        ; implicit-def: $sgpr57
	v_cmp_eq_u32_e32 vcc_lo, 0, v9
	s_branch .LBB12_625
.LBB12_622:                             ;   in Loop: Header=BB12_625 Depth=2
	s_waitcnt vmcnt(0) lgkmcnt(0)
	v_add_co_u32 v10, s18, v28, 8
	v_add_co_ci_u32_e64 v11, null, 0, v29, s18
	s_or_b32 s61, s61, exec_lo
	v_cmp_ge_u64_e64 s18, v[10:11], v[2:3]
	s_orn2_b32 s60, s18, exec_lo
.LBB12_623:                             ;   in Loop: Header=BB12_625 Depth=2
	s_or_b32 exec_lo, exec_lo, s63
	s_andn2_b32 s18, s57, exec_lo
	s_and_b32 s57, s61, exec_lo
	s_andn2_b32 s56, s56, exec_lo
	s_and_b32 s60, s60, exec_lo
	s_or_b32 s57, s18, s57
	s_or_b32 s56, s56, s60
.LBB12_624:                             ;   in Loop: Header=BB12_625 Depth=2
	s_or_b32 exec_lo, exec_lo, s59
	s_and_b32 s18, exec_lo, s56
	s_or_b32 s46, s18, s46
	s_andn2_b32 s18, s47, exec_lo
	s_and_b32 s47, s57, exec_lo
	s_or_b32 s47, s18, s47
	s_andn2_b32 exec_lo, exec_lo, s46
	s_cbranch_execz .LBB12_629
.LBB12_625:                             ;   Parent Loop BB12_77 Depth=1
                                        ; =>  This Inner Loop Header: Depth=2
	s_sleep 1
	s_waitcnt vmcnt(0) lgkmcnt(0)
	flat_load_dwordx2 v[28:29], v[20:21] glc dlc
	s_or_b32 s57, s57, exec_lo
	s_or_b32 s56, s56, exec_lo
                                        ; implicit-def: $vgpr9
	s_and_saveexec_b32 s59, vcc_lo
	s_cbranch_execz .LBB12_624
; %bb.626:                              ;   in Loop: Header=BB12_625 Depth=2
	s_cmpk_lt_i32 s58, 0x270f
	s_mov_b32 s60, -1
	s_cselect_b32 s62, -1, 0
	s_cmpk_gt_i32 s58, 0x270e
	s_cbranch_scc0 .LBB12_628
; %bb.627:                              ;   in Loop: Header=BB12_625 Depth=2
	s_trap 2
	ds_read_b64 v[9:10], v0
	s_andn2_b32 s58, s62, exec_lo
	s_mov_b32 s61, 0
	s_waitcnt vmcnt(0) lgkmcnt(0)
	s_waitcnt_vscnt null, 0x0
	flat_load_dword v9, v[9:10] glc dlc
	s_waitcnt vmcnt(0) lgkmcnt(0)
	buffer_gl1_inv
	buffer_gl0_inv
	v_cmp_eq_u32_e64 s18, 0, v9
	s_and_b32 s18, s18, exec_lo
	s_or_b32 s62, s58, s18
	s_mov_b32 s58, 0
	s_and_saveexec_b32 s63, s62
	s_cbranch_execz .LBB12_623
	s_branch .LBB12_622
.LBB12_628:                             ;   in Loop: Header=BB12_625 Depth=2
	s_add_i32 s58, s58, 1
	s_mov_b32 s61, -1
                                        ; implicit-def: $vgpr9
	s_and_saveexec_b32 s63, s62
	s_cbranch_execz .LBB12_623
	s_branch .LBB12_622
.LBB12_629:                             ;   in Loop: Header=BB12_77 Depth=1
	s_or_b32 exec_lo, exec_lo, s46
	s_xor_b32 s18, s47, -1
	s_and_saveexec_b32 s46, s18
	s_xor_b32 s18, exec_lo, s46
	s_cbranch_execz .LBB12_631
; %bb.630:                              ;   in Loop: Header=BB12_77 Depth=1
	v_or_b32_e32 v52, 64, v52
	s_waitcnt vmcnt(0) lgkmcnt(0)
	s_waitcnt_vscnt null, 0x0
	ds_write_b32 v0, v9
	s_trap 2
.LBB12_631:                             ;   in Loop: Header=BB12_77 Depth=1
	s_or_b32 exec_lo, exec_lo, s18
.LBB12_632:                             ;   in Loop: Header=BB12_77 Depth=1
	s_or_b32 exec_lo, exec_lo, s45
	v_and_b32_e32 v9, 0x100, v52
	v_and_b32_e32 v12, 7, v8
	s_mov_b32 s18, -1
	;;#ASMSTART
	s_wakeup
	;;#ASMEND
	v_cmp_ne_u32_e32 vcc_lo, 0, v9
                                        ; implicit-def: $vgpr8_vgpr9
	s_and_saveexec_b32 s45, vcc_lo
	s_cbranch_execz .LBB12_636
; %bb.633:                              ;   in Loop: Header=BB12_77 Depth=1
	v_mad_u64_u32 v[10:11], null, v12, 24, v[6:7]
	v_ashrrev_i32_e32 v37, 31, v36
	flat_load_dword v8, v[10:11]
	flat_store_dwordx2 v[10:11], v[36:37] offset:8
	s_waitcnt vmcnt(0) lgkmcnt(1)
	v_cmp_eq_u32_e64 s18, 1, v8
	v_cmp_ne_u32_e32 vcc_lo, 1, v8
                                        ; implicit-def: $vgpr8_vgpr9
	s_and_saveexec_b32 s46, s18
	s_cbranch_execz .LBB12_635
; %bb.634:                              ;   in Loop: Header=BB12_77 Depth=1
	flat_load_dword v8, v[10:11] offset:4 glc dlc
	s_waitcnt vmcnt(0) lgkmcnt(0)
	v_ashrrev_i32_e32 v9, 31, v8
.LBB12_635:                             ;   in Loop: Header=BB12_77 Depth=1
	s_or_b32 exec_lo, exec_lo, s46
	s_orn2_b32 s18, vcc_lo, exec_lo
.LBB12_636:                             ;   in Loop: Header=BB12_77 Depth=1
	s_or_b32 exec_lo, exec_lo, s45
	s_and_saveexec_b32 s45, s18
; %bb.637:                              ;   in Loop: Header=BB12_77 Depth=1
	v_mad_i64_i32 v[8:9], null, v12, v53, 0
; %bb.638:                              ;   in Loop: Header=BB12_77 Depth=1
	s_or_b32 exec_lo, exec_lo, s45
	v_add_co_u32 v8, vcc_lo, v22, v8
	v_and_b32_e32 v10, 0x2000, v52
	v_add_co_ci_u32_e64 v9, null, v23, v9, vcc_lo
	s_mov_b32 s18, exec_lo
	ds_write_b64 v0, v[8:9] offset:784
	v_cmpx_ne_u32_e32 0, v10
	s_cbranch_execz .LBB12_640
; %bb.639:                              ;   in Loop: Header=BB12_77 Depth=1
	ds_read_b64 v[8:9], v0 offset:872
	s_waitcnt lgkmcnt(0)
	v_add_co_u32 v8, vcc_lo, v8, 1
	v_add_co_ci_u32_e64 v9, null, 0, v9, vcc_lo
	ds_write_b64 v0, v[8:9] offset:872
.LBB12_640:                             ;   in Loop: Header=BB12_77 Depth=1
	s_or_b32 exec_lo, exec_lo, s18
	v_mov_b32_e32 v9, v3
	v_mov_b32_e32 v8, v2
.LBB12_641:                             ;   in Loop: Header=BB12_77 Depth=1
	s_or_b32 exec_lo, exec_lo, s19
	s_and_saveexec_b32 s18, s7
	s_cbranch_execz .LBB12_679
; %bb.642:                              ;   in Loop: Header=BB12_77 Depth=1
	s_and_saveexec_b32 s19, s27
	s_xor_b32 s19, exec_lo, s19
	s_cbranch_execz .LBB12_676
; %bb.643:                              ;   in Loop: Header=BB12_77 Depth=1
	s_and_saveexec_b32 s45, s12
	s_cbranch_execz .LBB12_675
; %bb.644:                              ;   in Loop: Header=BB12_77 Depth=1
	s_mov_b32 s47, exec_lo
	s_mov_b32 s46, exec_lo
	v_mbcnt_lo_u32_b32 v2, s47, 0
	s_waitcnt vmcnt(0) lgkmcnt(0)
	s_waitcnt_vscnt null, 0x0
	buffer_gl1_inv
	buffer_gl0_inv
	v_cmpx_eq_u32_e32 0, v2
	s_cbranch_execz .LBB12_646
; %bb.645:                              ;   in Loop: Header=BB12_77 Depth=1
	s_bcnt1_i32_b32 s47, s47
	v_mov_b32_e32 v3, v1
	v_mov_b32_e32 v2, s47
	ds_add_u64 v0, v[2:3]
	s_trap 2
.LBB12_646:                             ;   in Loop: Header=BB12_77 Depth=1
	s_or_b32 exec_lo, exec_lo, s46
	s_trap 2
	ds_read_b64 v[2:3], v0
	s_waitcnt lgkmcnt(0)
	buffer_gl0_inv
	v_add_co_u32 v24, vcc_lo, v24, v55
	v_add_co_ci_u32_e64 v25, null, 0, v25, vcc_lo
	s_mov_b32 s46, exec_lo
	v_cmpx_lt_u64_e64 v[2:3], v[24:25]
	s_cbranch_execz .LBB12_674
; %bb.647:                              ;   in Loop: Header=BB12_77 Depth=1
	s_mov_b32 s47, 0
	s_mov_b32 s58, 0
                                        ; implicit-def: $sgpr56
                                        ; implicit-def: $sgpr57
	s_inst_prefetch 0x1
	s_branch .LBB12_649
	.p2align	6
.LBB12_648:                             ;   in Loop: Header=BB12_649 Depth=2
	s_or_b32 exec_lo, exec_lo, s60
	s_and_b32 s59, exec_lo, s61
	s_or_b32 s47, s59, s47
	s_andn2_b32 s56, s56, exec_lo
	s_and_b32 s59, s57, exec_lo
	s_or_b32 s56, s56, s59
	s_andn2_b32 exec_lo, exec_lo, s47
	s_cbranch_execz .LBB12_672
.LBB12_649:                             ;   Parent Loop BB12_77 Depth=1
                                        ; =>  This Inner Loop Header: Depth=2
	s_add_i32 s58, s58, 1
	s_cmpk_lg_i32 s58, 0x2710
	s_cselect_b32 s59, -1, 0
	s_and_b32 vcc_lo, exec_lo, s59
	s_cbranch_vccz .LBB12_651
; %bb.650:                              ;   in Loop: Header=BB12_649 Depth=2
	s_mov_b32 s61, -1
	s_or_b32 s57, s57, exec_lo
	s_and_saveexec_b32 s60, s59
	s_cbranch_execz .LBB12_648
	s_branch .LBB12_652
	.p2align	6
.LBB12_651:                             ;   in Loop: Header=BB12_649 Depth=2
	s_trap 2
	ds_read_b64 v[2:3], v0
	s_andn2_b32 s59, s59, exec_lo
	s_mov_b32 s58, 0
	s_waitcnt lgkmcnt(0)
	flat_load_dword v2, v[2:3] glc dlc
	s_waitcnt vmcnt(0) lgkmcnt(0)
	buffer_gl1_inv
	buffer_gl0_inv
	v_cmp_eq_u32_e32 vcc_lo, 0, v2
	s_and_b32 s60, vcc_lo, exec_lo
	s_or_b32 s59, s59, s60
	s_mov_b32 s61, -1
	s_or_b32 s57, s57, exec_lo
	s_and_saveexec_b32 s60, s59
	s_cbranch_execz .LBB12_648
.LBB12_652:                             ;   in Loop: Header=BB12_649 Depth=2
	s_sleep 1
	s_trap 2
	ds_read_b64 v[2:3], v0
	s_waitcnt lgkmcnt(0)
	buffer_gl0_inv
	s_andn2_b32 s57, s57, exec_lo
	v_cmp_ge_u64_e32 vcc_lo, v[2:3], v[24:25]
	s_orn2_b32 s61, vcc_lo, exec_lo
	s_branch .LBB12_648
.LBB12_653:                             ;   in Loop: Header=BB12_77 Depth=1
	s_inst_prefetch 0x2
	s_or_b32 exec_lo, exec_lo, s46
	s_and_saveexec_b32 s46, s47
	s_xor_b32 s46, exec_lo, s46
	s_cbranch_execz .LBB12_655
; %bb.654:                              ;   in Loop: Header=BB12_77 Depth=1
	ds_write_b32 v0, v66
	s_trap 2
.LBB12_655:                             ;   in Loop: Header=BB12_77 Depth=1
	s_or_b32 exec_lo, exec_lo, s45
	;;#ASMSTART
	s_wakeup
	;;#ASMEND
.LBB12_656:                             ;   in Loop: Header=BB12_77 Depth=1
	s_or_b32 exec_lo, exec_lo, s43
.LBB12_657:                             ;   in Loop: Header=BB12_77 Depth=1
	s_andn2_saveexec_b32 s20, s20
	s_cbranch_execz .LBB12_659
; %bb.658:                              ;   in Loop: Header=BB12_77 Depth=1
	s_waitcnt vmcnt(0) lgkmcnt(0)
	s_waitcnt_vscnt null, 0x0
	buffer_gl1_inv
	buffer_gl0_inv
	s_barrier
.LBB12_659:                             ;   in Loop: Header=BB12_77 Depth=1
	s_or_b32 exec_lo, exec_lo, s20
.LBB12_660:                             ;   in Loop: Header=BB12_77 Depth=1
	s_or_b32 exec_lo, exec_lo, s19
	s_trap 2
	ds_read_b32 v12, v0
	v_and_b32_e32 v2, 0x4000, v52
	v_cmp_ne_u32_e32 vcc_lo, 0, v2
	s_and_b32 s20, s42, vcc_lo
	s_and_saveexec_b32 s19, s20
	s_cbranch_execz .LBB12_698
; %bb.661:                              ;   in Loop: Header=BB12_77 Depth=1
	s_and_saveexec_b32 s20, s27
	s_xor_b32 s20, exec_lo, s20
	s_cbranch_execz .LBB12_695
; %bb.662:                              ;   in Loop: Header=BB12_77 Depth=1
	s_and_saveexec_b32 s43, s12
	s_cbranch_execz .LBB12_694
; %bb.663:                              ;   in Loop: Header=BB12_77 Depth=1
	s_mov_b32 s46, exec_lo
	s_mov_b32 s45, exec_lo
	v_mbcnt_lo_u32_b32 v2, s46, 0
	s_waitcnt vmcnt(0) lgkmcnt(0)
	s_waitcnt_vscnt null, 0x0
	buffer_gl1_inv
	buffer_gl0_inv
	v_cmpx_eq_u32_e32 0, v2
	s_cbranch_execz .LBB12_665
; %bb.664:                              ;   in Loop: Header=BB12_77 Depth=1
	s_bcnt1_i32_b32 s46, s46
	v_mov_b32_e32 v3, v1
	v_mov_b32_e32 v2, s46
	ds_add_u64 v0, v[2:3]
	s_trap 2
.LBB12_665:                             ;   in Loop: Header=BB12_77 Depth=1
	s_or_b32 exec_lo, exec_lo, s45
	s_trap 2
	ds_read_b64 v[2:3], v0
	s_waitcnt lgkmcnt(0)
	buffer_gl0_inv
	v_add_co_u32 v24, vcc_lo, v24, v55
	v_add_co_ci_u32_e64 v25, null, 0, v25, vcc_lo
	s_mov_b32 s45, exec_lo
	v_cmpx_lt_u64_e64 v[2:3], v[24:25]
	s_cbranch_execz .LBB12_693
; %bb.666:                              ;   in Loop: Header=BB12_77 Depth=1
	s_mov_b32 s46, 0
	s_mov_b32 s57, 0
                                        ; implicit-def: $sgpr47
                                        ; implicit-def: $sgpr56
	s_inst_prefetch 0x1
	s_branch .LBB12_668
	.p2align	6
.LBB12_667:                             ;   in Loop: Header=BB12_668 Depth=2
	s_or_b32 exec_lo, exec_lo, s59
	s_and_b32 s58, exec_lo, s60
	s_or_b32 s46, s58, s46
	s_andn2_b32 s47, s47, exec_lo
	s_and_b32 s58, s56, exec_lo
	s_or_b32 s47, s47, s58
	s_andn2_b32 exec_lo, exec_lo, s46
	s_cbranch_execz .LBB12_691
.LBB12_668:                             ;   Parent Loop BB12_77 Depth=1
                                        ; =>  This Inner Loop Header: Depth=2
	s_add_i32 s57, s57, 1
	s_cmpk_lg_i32 s57, 0x2710
	s_cselect_b32 s58, -1, 0
	s_and_b32 vcc_lo, exec_lo, s58
	s_cbranch_vccz .LBB12_670
; %bb.669:                              ;   in Loop: Header=BB12_668 Depth=2
	s_mov_b32 s60, -1
	s_or_b32 s56, s56, exec_lo
	s_and_saveexec_b32 s59, s58
	s_cbranch_execz .LBB12_667
	s_branch .LBB12_671
	.p2align	6
.LBB12_670:                             ;   in Loop: Header=BB12_668 Depth=2
	s_trap 2
	ds_read_b64 v[2:3], v0
	s_andn2_b32 s58, s58, exec_lo
	s_mov_b32 s57, 0
	s_waitcnt lgkmcnt(0)
	flat_load_dword v2, v[2:3] glc dlc
	s_waitcnt vmcnt(0) lgkmcnt(0)
	buffer_gl1_inv
	buffer_gl0_inv
	v_cmp_eq_u32_e32 vcc_lo, 0, v2
	s_and_b32 s59, vcc_lo, exec_lo
	s_or_b32 s58, s58, s59
	s_mov_b32 s60, -1
	s_or_b32 s56, s56, exec_lo
	s_and_saveexec_b32 s59, s58
	s_cbranch_execz .LBB12_667
.LBB12_671:                             ;   in Loop: Header=BB12_668 Depth=2
	s_sleep 1
	s_trap 2
	ds_read_b64 v[2:3], v0
	s_waitcnt lgkmcnt(0)
	buffer_gl0_inv
	s_andn2_b32 s56, s56, exec_lo
	v_cmp_ge_u64_e32 vcc_lo, v[2:3], v[24:25]
	s_orn2_b32 s60, vcc_lo, exec_lo
	s_branch .LBB12_667
.LBB12_672:                             ;   in Loop: Header=BB12_77 Depth=1
	s_inst_prefetch 0x2
	s_or_b32 exec_lo, exec_lo, s47
	s_and_saveexec_b32 s47, s56
	s_xor_b32 s47, exec_lo, s47
	s_cbranch_execz .LBB12_674
; %bb.673:                              ;   in Loop: Header=BB12_77 Depth=1
	ds_write_b32 v0, v66
	s_trap 2
.LBB12_674:                             ;   in Loop: Header=BB12_77 Depth=1
	s_or_b32 exec_lo, exec_lo, s46
	;;#ASMSTART
	s_wakeup
	;;#ASMEND
.LBB12_675:                             ;   in Loop: Header=BB12_77 Depth=1
	s_or_b32 exec_lo, exec_lo, s45
.LBB12_676:                             ;   in Loop: Header=BB12_77 Depth=1
	s_andn2_saveexec_b32 s19, s19
	s_cbranch_execz .LBB12_678
; %bb.677:                              ;   in Loop: Header=BB12_77 Depth=1
	s_waitcnt vmcnt(0) lgkmcnt(0)
	s_waitcnt_vscnt null, 0x0
	buffer_gl1_inv
	buffer_gl0_inv
	s_barrier
.LBB12_678:                             ;   in Loop: Header=BB12_77 Depth=1
	s_or_b32 exec_lo, exec_lo, s19
.LBB12_679:                             ;   in Loop: Header=BB12_77 Depth=1
	s_or_b32 exec_lo, exec_lo, s18
	s_trap 2
	ds_read_b32 v12, v0
	v_and_b32_e32 v2, 0x4000, v52
	v_cmp_ne_u32_e32 vcc_lo, 0, v2
	s_and_b32 s19, s42, vcc_lo
	s_and_saveexec_b32 s18, s19
	s_cbranch_execz .LBB12_751
; %bb.680:                              ;   in Loop: Header=BB12_77 Depth=1
	s_and_saveexec_b32 s19, s27
	s_xor_b32 s19, exec_lo, s19
	s_cbranch_execz .LBB12_748
; %bb.681:                              ;   in Loop: Header=BB12_77 Depth=1
	s_and_saveexec_b32 s45, s12
	s_cbranch_execz .LBB12_747
; %bb.682:                              ;   in Loop: Header=BB12_77 Depth=1
	s_mov_b32 s47, exec_lo
	s_mov_b32 s46, exec_lo
	v_mbcnt_lo_u32_b32 v2, s47, 0
	s_waitcnt vmcnt(0) lgkmcnt(0)
	s_waitcnt_vscnt null, 0x0
	buffer_gl1_inv
	buffer_gl0_inv
	v_cmpx_eq_u32_e32 0, v2
	s_cbranch_execz .LBB12_684
; %bb.683:                              ;   in Loop: Header=BB12_77 Depth=1
	s_bcnt1_i32_b32 s47, s47
	v_mov_b32_e32 v3, v1
	v_mov_b32_e32 v2, s47
	ds_add_u64 v0, v[2:3]
	s_trap 2
.LBB12_684:                             ;   in Loop: Header=BB12_77 Depth=1
	s_or_b32 exec_lo, exec_lo, s46
	s_trap 2
	ds_read_b64 v[2:3], v0
	s_waitcnt lgkmcnt(0)
	buffer_gl0_inv
	v_add_co_u32 v24, vcc_lo, v24, v55
	v_add_co_ci_u32_e64 v25, null, 0, v25, vcc_lo
	s_mov_b32 s46, exec_lo
	v_cmpx_lt_u64_e64 v[2:3], v[24:25]
	s_cbranch_execz .LBB12_746
; %bb.685:                              ;   in Loop: Header=BB12_77 Depth=1
	s_mov_b32 s47, 0
	s_mov_b32 s58, 0
                                        ; implicit-def: $sgpr56
                                        ; implicit-def: $sgpr57
	s_inst_prefetch 0x1
	s_branch .LBB12_687
	.p2align	6
.LBB12_686:                             ;   in Loop: Header=BB12_687 Depth=2
	s_or_b32 exec_lo, exec_lo, s60
	s_and_b32 s59, exec_lo, s61
	s_or_b32 s47, s59, s47
	s_andn2_b32 s56, s56, exec_lo
	s_and_b32 s59, s57, exec_lo
	s_or_b32 s56, s56, s59
	s_andn2_b32 exec_lo, exec_lo, s47
	s_cbranch_execz .LBB12_744
.LBB12_687:                             ;   Parent Loop BB12_77 Depth=1
                                        ; =>  This Inner Loop Header: Depth=2
	s_add_i32 s58, s58, 1
	s_cmpk_lg_i32 s58, 0x2710
	s_cselect_b32 s59, -1, 0
	s_and_b32 vcc_lo, exec_lo, s59
	s_cbranch_vccz .LBB12_689
; %bb.688:                              ;   in Loop: Header=BB12_687 Depth=2
	s_mov_b32 s61, -1
	s_or_b32 s57, s57, exec_lo
	s_and_saveexec_b32 s60, s59
	s_cbranch_execz .LBB12_686
	s_branch .LBB12_690
	.p2align	6
.LBB12_689:                             ;   in Loop: Header=BB12_687 Depth=2
	s_trap 2
	ds_read_b64 v[2:3], v0
	s_andn2_b32 s59, s59, exec_lo
	s_mov_b32 s58, 0
	s_waitcnt lgkmcnt(0)
	flat_load_dword v2, v[2:3] glc dlc
	s_waitcnt vmcnt(0) lgkmcnt(0)
	buffer_gl1_inv
	buffer_gl0_inv
	v_cmp_eq_u32_e32 vcc_lo, 0, v2
	s_and_b32 s60, vcc_lo, exec_lo
	s_or_b32 s59, s59, s60
	s_mov_b32 s61, -1
	s_or_b32 s57, s57, exec_lo
	s_and_saveexec_b32 s60, s59
	s_cbranch_execz .LBB12_686
.LBB12_690:                             ;   in Loop: Header=BB12_687 Depth=2
	s_sleep 1
	s_trap 2
	ds_read_b64 v[2:3], v0
	s_waitcnt lgkmcnt(0)
	buffer_gl0_inv
	s_andn2_b32 s57, s57, exec_lo
	v_cmp_ge_u64_e32 vcc_lo, v[2:3], v[24:25]
	s_orn2_b32 s61, vcc_lo, exec_lo
	s_branch .LBB12_686
.LBB12_691:                             ;   in Loop: Header=BB12_77 Depth=1
	s_inst_prefetch 0x2
	s_or_b32 exec_lo, exec_lo, s46
	s_and_saveexec_b32 s46, s47
	s_xor_b32 s46, exec_lo, s46
	s_cbranch_execz .LBB12_693
; %bb.692:                              ;   in Loop: Header=BB12_77 Depth=1
	ds_write_b32 v0, v66
	s_trap 2
.LBB12_693:                             ;   in Loop: Header=BB12_77 Depth=1
	s_or_b32 exec_lo, exec_lo, s45
	;;#ASMSTART
	s_wakeup
	;;#ASMEND
.LBB12_694:                             ;   in Loop: Header=BB12_77 Depth=1
	s_or_b32 exec_lo, exec_lo, s43
.LBB12_695:                             ;   in Loop: Header=BB12_77 Depth=1
	s_andn2_saveexec_b32 s20, s20
	s_cbranch_execz .LBB12_697
; %bb.696:                              ;   in Loop: Header=BB12_77 Depth=1
	s_waitcnt vmcnt(0) lgkmcnt(0)
	s_waitcnt_vscnt null, 0x0
	buffer_gl1_inv
	buffer_gl0_inv
	s_barrier
.LBB12_697:                             ;   in Loop: Header=BB12_77 Depth=1
	s_or_b32 exec_lo, exec_lo, s20
.LBB12_698:                             ;   in Loop: Header=BB12_77 Depth=1
	s_or_b32 exec_lo, exec_lo, s19
	s_trap 2
	ds_read_b64 v[2:3], v0
	v_min_i32_e32 v36, v36, v102
	s_waitcnt lgkmcnt(0)
	v_cmp_eq_u64_e32 vcc_lo, 0, v[2:3]
	s_cbranch_vccnz .LBB12_732
; %bb.699:                              ;   in Loop: Header=BB12_77 Depth=1
	s_trap 2
	ds_read_b64 v[10:11], v0
	s_waitcnt lgkmcnt(0)
	v_cmp_eq_u64_e32 vcc_lo, 0, v[10:11]
	s_cbranch_vccnz .LBB12_732
; %bb.700:                              ;   in Loop: Header=BB12_77 Depth=1
	s_mov_b32 s19, -1
	s_and_saveexec_b32 s20, s13
	s_cbranch_execz .LBB12_702
; %bb.701:                              ;   in Loop: Header=BB12_77 Depth=1
	ds_read_b32 v13, v0 offset:720
	s_waitcnt lgkmcnt(0)
	v_and_b32_e32 v13, 15, v13
	v_cmp_eq_u32_e32 vcc_lo, 0, v13
	s_orn2_b32 s19, vcc_lo, exec_lo
.LBB12_702:                             ;   in Loop: Header=BB12_77 Depth=1
	s_or_b32 exec_lo, exec_lo, s20
	s_and_saveexec_b32 s20, s16
	s_cbranch_execz .LBB12_704
; %bb.703:                              ;   in Loop: Header=BB12_77 Depth=1
	ds_read_b32 v13, v0 offset:784
	s_waitcnt lgkmcnt(0)
	v_and_b32_e32 v13, 15, v13
	v_cmp_eq_u32_e32 vcc_lo, 0, v13
	s_and_b32 s43, s19, vcc_lo
	s_andn2_b32 s19, s19, exec_lo
	s_and_b32 s43, s43, exec_lo
	s_or_b32 s19, s19, s43
.LBB12_704:                             ;   in Loop: Header=BB12_77 Depth=1
	s_or_b32 exec_lo, exec_lo, s20
	v_cmp_eq_u32_e32 vcc_lo, 0, v12
	s_xor_b32 s19, s19, -1
	v_mov_b32_e32 v12, 0
	v_cndmask_b32_e64 v13, 0, 1, s19
	v_mov_b32_e32 v37, v0
	v_cndmask_b32_e32 v48, 0, v36, vcc_lo
	v_mov_b32_e32 v112, v82
	s_mov_b32 s19, -1
	v_cmp_ne_u32_e32 vcc_lo, 0, v13
	v_mov_b32_e32 v13, v48
	s_cbranch_vccnz .LBB12_718
; %bb.705:                              ;   in Loop: Header=BB12_77 Depth=1
	v_ashrrev_i32_e32 v12, 31, v48
	s_mov_b32 s20, exec_lo
	v_lshrrev_b32_e32 v12, 20, v12
	v_add_nc_u32_e32 v12, v48, v12
	v_ashrrev_i32_e32 v50, 12, v12
	v_sub_nc_u32_e32 v49, v50, v82
	v_cmpx_lt_i32_e32 0, v49
	s_cbranch_execz .LBB12_709
; %bb.706:                              ;   in Loop: Header=BB12_77 Depth=1
	v_mov_b32_e32 v13, v11
	v_mov_b32_e32 v38, v3
	;; [unrolled: 1-line block ×4, first 2 shown]
	s_mov_b32 s43, 0
.LBB12_707:                             ;   Parent Loop BB12_77 Depth=1
                                        ; =>  This Inner Loop Header: Depth=2
	v_add_co_u32 v44, vcc_lo, v99, v37
	v_add_co_ci_u32_e64 v45, null, v101, v38, vcc_lo
	v_sub_nc_u32_e32 v49, v49, v55
	v_add_co_u32 v76, vcc_lo, 0x800, v44
	v_add_co_ci_u32_e64 v77, null, 0, v45, vcc_lo
	s_clause 0x3
	global_load_dwordx4 v[112:115], v[44:45], off slc
	global_load_dwordx4 v[116:119], v[44:45], off offset:512 slc
	global_load_dwordx4 v[40:43], v[44:45], off offset:1024 slc
	;; [unrolled: 1-line block ×3, first 2 shown]
	s_clause 0x3
	global_load_dwordx4 v[56:59], v[76:77], off slc
	global_load_dwordx4 v[60:63], v[76:77], off offset:512 slc
	global_load_dwordx4 v[72:75], v[76:77], off offset:1024 slc
	;; [unrolled: 1-line block ×3, first 2 shown]
	v_add_co_u32 v88, vcc_lo, v99, v12
	v_add_co_ci_u32_e64 v89, null, v101, v13, vcc_lo
	v_add_co_u32 v37, vcc_lo, v37, v80
	v_add_co_ci_u32_e64 v38, null, 0, v38, vcc_lo
	v_add_co_u32 v12, vcc_lo, v12, v80
	v_add_co_ci_u32_e64 v13, null, 0, v13, vcc_lo
	v_cmp_gt_i32_e32 vcc_lo, 1, v49
	v_add_co_u32 v90, s19, 0x800, v88
	v_add_co_ci_u32_e64 v91, null, 0, v89, s19
	s_or_b32 s43, vcc_lo, s43
	s_waitcnt vmcnt(7)
	global_store_dwordx4 v[88:89], v[112:115], off glc slc
	s_waitcnt vmcnt(6)
	global_store_dwordx4 v[88:89], v[116:119], off offset:512 glc slc
	s_waitcnt vmcnt(5)
	global_store_dwordx4 v[88:89], v[40:43], off offset:1024 glc slc
	;; [unrolled: 2-line block ×3, first 2 shown]
	s_waitcnt vmcnt(3)
	global_store_dwordx4 v[90:91], v[56:59], off glc slc
	s_waitcnt vmcnt(2)
	global_store_dwordx4 v[90:91], v[60:63], off offset:512 glc slc
	s_waitcnt vmcnt(1)
	global_store_dwordx4 v[90:91], v[72:75], off offset:1024 glc slc
	;; [unrolled: 2-line block ×3, first 2 shown]
	s_andn2_b32 exec_lo, exec_lo, s43
	s_cbranch_execnz .LBB12_707
; %bb.708:                              ;   in Loop: Header=BB12_77 Depth=1
	s_or_b32 exec_lo, exec_lo, s43
.LBB12_709:                             ;   in Loop: Header=BB12_77 Depth=1
	s_or_b32 exec_lo, exec_lo, s20
	v_lshlrev_b32_e32 v38, 12, v50
	v_mov_b32_e32 v12, 0
	s_mov_b32 s19, 0
	s_mov_b32 s43, exec_lo
                                        ; implicit-def: $vgpr13
                                        ; implicit-def: $vgpr37
                                        ; implicit-def: $vgpr112
	v_cmpx_ne_u32_e64 v48, v38
	s_cbranch_execz .LBB12_717
; %bb.710:                              ;   in Loop: Header=BB12_77 Depth=1
	v_lshlrev_b32_e32 v12, 5, v49
	v_sub_nc_u32_e32 v37, v48, v38
	s_mov_b32 s45, exec_lo
	v_sub_nc_u32_e32 v12, v85, v12
	v_ashrrev_i32_e32 v49, 31, v37
	v_ashrrev_i32_e32 v13, 31, v12
	v_lshrrev_b32_e32 v49, 23, v49
	v_lshrrev_b32_e32 v13, 27, v13
	v_add_nc_u32_e32 v103, v37, v49
	v_add_nc_u32_e32 v13, v12, v13
	v_and_b32_e32 v49, 0xfffffe00, v103
	v_ashrrev_i32_e32 v103, 9, v103
	v_and_b32_e32 v50, 0xffffffe0, v13
	v_sub_nc_u32_e32 v51, v37, v49
	v_ashrrev_i32_e32 v112, 5, v13
	v_sub_nc_u32_e32 v50, v12, v50
	v_cmp_lt_i32_e32 vcc_lo, 15, v51
	v_lshlrev_b32_e32 v12, 4, v50
	v_add_co_ci_u32_e64 v103, null, 0, v103, vcc_lo
	v_lshl_add_u32 v13, v112, 9, v12
	v_sub_nc_u32_e32 v103, v103, v112
	v_sub_nc_u32_e32 v12, v37, v13
	v_cmpx_lt_i32_e32 15, v12
	s_cbranch_execz .LBB12_714
; %bb.711:                              ;   in Loop: Header=BB12_77 Depth=1
	v_add_nc_u32_e32 v13, v13, v38
	s_mov_b32 s46, 0
	v_ashrrev_i32_e32 v37, 31, v13
	.p2align	6
.LBB12_712:                             ;   Parent Loop BB12_77 Depth=1
                                        ; =>  This Inner Loop Header: Depth=2
	v_add_co_u32 v112, s19, v2, v13
	v_add_co_ci_u32_e64 v113, null, v3, v37, s19
	v_sub_nc_u32_e32 v12, v12, v69
	v_add_co_u32 v116, s19, v10, v13
	global_load_dwordx4 v[112:115], v[112:113], off slc
	v_add_co_ci_u32_e64 v117, null, v11, v37, s19
	v_cmp_gt_i32_e64 s19, 16, v12
	v_add_co_u32 v13, s20, v13, v97
	v_sub_nc_u32_e32 v103, v103, v55
	v_add_co_ci_u32_e64 v37, null, v37, v98, s20
	s_or_b32 s46, s19, s46
	s_waitcnt vmcnt(0)
	global_store_dwordx4 v[116:117], v[112:115], off glc slc
	s_andn2_b32 exec_lo, exec_lo, s46
	s_cbranch_execnz .LBB12_712
; %bb.713:                              ;   in Loop: Header=BB12_77 Depth=1
	s_or_b32 exec_lo, exec_lo, s46
.LBB12_714:                             ;   in Loop: Header=BB12_77 Depth=1
	s_or_b32 exec_lo, exec_lo, s45
	v_and_b32_e32 v113, 15, v48
	v_mov_b32_e32 v12, 0
	s_mov_b32 s20, 0
	s_mov_b32 s45, exec_lo
                                        ; implicit-def: $vgpr37
                                        ; implicit-def: $vgpr112
	v_cndmask_b32_e32 v13, v51, v113, vcc_lo
	v_cmpx_ne_u32_e32 0, v13
	s_cbranch_execz .LBB12_716
; %bb.715:                              ;   in Loop: Header=BB12_77 Depth=1
	v_cmp_lt_i32_e64 s19, 0, v103
	s_mov_b32 s20, exec_lo
	v_cndmask_b32_e64 v12, 0, v55, s19
	v_sub_nc_u32_e32 v12, v12, v103
	v_lshl_add_u32 v37, v12, 5, v50
	v_sub_nc_u32_e32 v50, v51, v113
	v_ashrrev_i32_e32 v12, 31, v37
	v_cndmask_b32_e32 v50, 0, v50, vcc_lo
	v_lshrrev_b32_e32 v12, 27, v12
	v_add_nc_u32_e32 v51, v37, v12
	v_add3_u32 v12, v49, v38, v50
	v_ashrrev_i32_e32 v112, 5, v51
.LBB12_716:                             ;   in Loop: Header=BB12_77 Depth=1
	s_or_b32 exec_lo, exec_lo, s45
	s_and_b32 s19, s20, exec_lo
.LBB12_717:                             ;   in Loop: Header=BB12_77 Depth=1
	s_or_b32 exec_lo, exec_lo, s43
.LBB12_718:                             ;   in Loop: Header=BB12_77 Depth=1
	s_and_saveexec_b32 s20, s19
	s_cbranch_execz .LBB12_727
; %bb.719:                              ;   in Loop: Header=BB12_77 Depth=1
	v_ashrrev_i32_e32 v38, 31, v13
	v_ashrrev_i32_e32 v49, 31, v37
	s_mov_b32 s19, exec_lo
	v_lshrrev_b32_e32 v38, 22, v38
	v_lshrrev_b32_e32 v49, 27, v49
	v_add_nc_u32_e32 v38, v13, v38
	v_ashrrev_i32_e32 v50, 10, v38
	v_sub_nc_u32_e32 v38, v50, v112
	v_cmpx_lt_i32_e32 0, v38
	s_cbranch_execz .LBB12_723
; %bb.720:                              ;   in Loop: Header=BB12_77 Depth=1
	v_add_nc_u32_e32 v51, v37, v49
	v_lshlrev_b32_e32 v103, 10, v112
	s_mov_b32 s43, 0
	v_and_b32_e32 v51, 0xffffffe0, v51
	v_sub_nc_u32_e32 v51, v37, v51
	v_add3_u32 v51, v12, v51, v103
	v_ashrrev_i32_e32 v103, 31, v51
.LBB12_721:                             ;   Parent Loop BB12_77 Depth=1
                                        ; =>  This Inner Loop Header: Depth=2
	v_add_co_u32 v112, vcc_lo, v51, v2
	v_add_co_ci_u32_e64 v113, null, v103, v3, vcc_lo
	v_sub_nc_u32_e32 v38, v38, v55
	s_clause 0x1f
	flat_load_ubyte v114, v[112:113] slc
	flat_load_ubyte v115, v[112:113] offset:32 slc
	flat_load_ubyte v116, v[112:113] offset:64 slc
	;; [unrolled: 1-line block ×31, first 2 shown]
	v_add_co_u32 v112, vcc_lo, v51, v10
	v_add_co_ci_u32_e64 v113, null, v103, v11, vcc_lo
	v_add_co_u32 v2, vcc_lo, v2, v70
	v_add_co_ci_u32_e64 v3, null, 0, v3, vcc_lo
	;; [unrolled: 2-line block ×3, first 2 shown]
	v_cmp_gt_i32_e32 vcc_lo, 1, v38
	s_waitcnt vmcnt(31) lgkmcnt(31)
	flat_store_byte v[112:113], v114 glc slc
	s_waitcnt vmcnt(30) lgkmcnt(31)
	flat_store_byte v[112:113], v115 offset:32 glc slc
	s_waitcnt vmcnt(29) lgkmcnt(31)
	flat_store_byte v[112:113], v116 offset:64 glc slc
	;; [unrolled: 2-line block ×31, first 2 shown]
	s_or_b32 s43, vcc_lo, s43
	s_andn2_b32 exec_lo, exec_lo, s43
	s_cbranch_execnz .LBB12_721
; %bb.722:                              ;   in Loop: Header=BB12_77 Depth=1
	s_or_b32 exec_lo, exec_lo, s43
.LBB12_723:                             ;   in Loop: Header=BB12_77 Depth=1
	s_or_b32 exec_lo, exec_lo, s19
	v_lshlrev_b32_e32 v2, 10, v50
	v_cmp_ne_u32_e32 vcc_lo, v13, v2
	s_and_b32 exec_lo, exec_lo, vcc_lo
	s_cbranch_execz .LBB12_727
; %bb.724:                              ;   in Loop: Header=BB12_77 Depth=1
	v_add_nc_u32_e32 v3, v37, v49
	v_lshlrev_b32_e32 v10, 5, v38
	v_and_b32_e32 v3, 0xffffffe0, v3
	v_sub_nc_u32_e32 v3, v37, v3
	v_sub_nc_u32_e32 v3, v3, v10
	v_add_nc_u32_e32 v11, v2, v3
	v_sub_nc_u32_e32 v10, v13, v11
	v_cmp_lt_i32_e32 vcc_lo, 0, v10
	s_and_b32 exec_lo, exec_lo, vcc_lo
	s_cbranch_execz .LBB12_727
; %bb.725:                              ;   in Loop: Header=BB12_77 Depth=1
	s_trap 2
	ds_read_b64 v[2:3], v0
	v_add_nc_u32_e32 v11, v11, v12
	s_mov_b32 s43, 0
	v_ashrrev_i32_e32 v12, 31, v11
	.p2align	6
.LBB12_726:                             ;   Parent Loop BB12_77 Depth=1
                                        ; =>  This Inner Loop Header: Depth=2
	s_waitcnt lgkmcnt(0)
	v_add_co_u32 v37, vcc_lo, v2, v11
	v_add_co_ci_u32_e64 v38, null, v3, v12, vcc_lo
	v_sub_nc_u32_e32 v10, v10, v64
	v_add_co_u32 v11, s19, v11, v86
	flat_load_ubyte v13, v[37:38] slc
	v_add_co_ci_u32_e64 v12, null, v12, v87, s19
	v_cmp_gt_i32_e32 vcc_lo, 1, v10
	s_or_b32 s43, vcc_lo, s43
	s_waitcnt vmcnt(0) lgkmcnt(0)
	flat_store_byte v[37:38], v13 glc slc
	s_andn2_b32 exec_lo, exec_lo, s43
	s_cbranch_execnz .LBB12_726
.LBB12_727:                             ;   in Loop: Header=BB12_77 Depth=1
	s_or_b32 exec_lo, exec_lo, s20
	v_cmp_lt_i32_e64 s19, 0, v48
	s_and_saveexec_b32 s20, s7
	s_cbranch_execnz .LBB12_733
.LBB12_728:                             ;   in Loop: Header=BB12_77 Depth=1
	s_or_b32 exec_lo, exec_lo, s20
	s_and_saveexec_b32 s20, s15
	s_xor_b32 s20, exec_lo, s20
	s_cbranch_execz .LBB12_804
.LBB12_729:                             ;   in Loop: Header=BB12_77 Depth=1
	v_and_b32_e32 v2, 16, v52
	v_cmp_ne_u32_e32 vcc_lo, 0, v2
	s_and_b32 s43, vcc_lo, s19
	s_and_saveexec_b32 s19, s43
	s_cbranch_execz .LBB12_731
; %bb.730:                              ;   in Loop: Header=BB12_77 Depth=1
	s_waitcnt vmcnt(0) lgkmcnt(0)
	s_waitcnt_vscnt null, 0x0
	buffer_gl1_inv
	buffer_gl0_inv
.LBB12_731:                             ;   in Loop: Header=BB12_77 Depth=1
	s_or_b32 exec_lo, exec_lo, s19
	s_andn2_saveexec_b32 s19, s20
	s_cbranch_execz .LBB12_842
	s_branch .LBB12_805
.LBB12_732:                             ;   in Loop: Header=BB12_77 Depth=1
	s_mov_b32 s19, 0
	s_and_saveexec_b32 s20, s7
	s_cbranch_execz .LBB12_728
.LBB12_733:                             ;   in Loop: Header=BB12_77 Depth=1
	s_and_saveexec_b32 s43, s27
	s_xor_b32 s43, exec_lo, s43
	s_cbranch_execz .LBB12_801
; %bb.734:                              ;   in Loop: Header=BB12_77 Depth=1
	s_and_saveexec_b32 s45, s12
	s_cbranch_execz .LBB12_800
; %bb.735:                              ;   in Loop: Header=BB12_77 Depth=1
	s_mov_b32 s47, exec_lo
	s_mov_b32 s46, exec_lo
	v_mbcnt_lo_u32_b32 v2, s47, 0
	s_waitcnt vmcnt(0) lgkmcnt(0)
	s_waitcnt_vscnt null, 0x0
	buffer_gl1_inv
	buffer_gl0_inv
	v_cmpx_eq_u32_e32 0, v2
	s_cbranch_execz .LBB12_737
; %bb.736:                              ;   in Loop: Header=BB12_77 Depth=1
	s_bcnt1_i32_b32 s47, s47
	v_mov_b32_e32 v3, v1
	v_mov_b32_e32 v2, s47
	ds_add_u64 v0, v[2:3]
	s_trap 2
.LBB12_737:                             ;   in Loop: Header=BB12_77 Depth=1
	s_or_b32 exec_lo, exec_lo, s46
	s_trap 2
	ds_read_b64 v[2:3], v0
	s_waitcnt lgkmcnt(0)
	buffer_gl0_inv
	v_add_co_u32 v24, vcc_lo, v24, v55
	v_add_co_ci_u32_e64 v25, null, 0, v25, vcc_lo
	s_mov_b32 s46, exec_lo
	v_cmpx_lt_u64_e64 v[2:3], v[24:25]
	s_cbranch_execz .LBB12_799
; %bb.738:                              ;   in Loop: Header=BB12_77 Depth=1
	s_mov_b32 s47, 0
	s_mov_b32 s58, 0
                                        ; implicit-def: $sgpr56
                                        ; implicit-def: $sgpr57
	s_inst_prefetch 0x1
	s_branch .LBB12_740
	.p2align	6
.LBB12_739:                             ;   in Loop: Header=BB12_740 Depth=2
	s_or_b32 exec_lo, exec_lo, s60
	s_and_b32 s59, exec_lo, s61
	s_or_b32 s47, s59, s47
	s_andn2_b32 s56, s56, exec_lo
	s_and_b32 s59, s57, exec_lo
	s_or_b32 s56, s56, s59
	s_andn2_b32 exec_lo, exec_lo, s47
	s_cbranch_execz .LBB12_797
.LBB12_740:                             ;   Parent Loop BB12_77 Depth=1
                                        ; =>  This Inner Loop Header: Depth=2
	s_add_i32 s58, s58, 1
	s_cmpk_lg_i32 s58, 0x2710
	s_cselect_b32 s59, -1, 0
	s_and_b32 vcc_lo, exec_lo, s59
	s_cbranch_vccz .LBB12_742
; %bb.741:                              ;   in Loop: Header=BB12_740 Depth=2
	s_mov_b32 s61, -1
	s_or_b32 s57, s57, exec_lo
	s_and_saveexec_b32 s60, s59
	s_cbranch_execz .LBB12_739
	s_branch .LBB12_743
	.p2align	6
.LBB12_742:                             ;   in Loop: Header=BB12_740 Depth=2
	s_trap 2
	ds_read_b64 v[2:3], v0
	s_andn2_b32 s59, s59, exec_lo
	s_mov_b32 s58, 0
	s_waitcnt lgkmcnt(0)
	flat_load_dword v2, v[2:3] glc dlc
	s_waitcnt vmcnt(0) lgkmcnt(0)
	buffer_gl1_inv
	buffer_gl0_inv
	v_cmp_eq_u32_e32 vcc_lo, 0, v2
	s_and_b32 s60, vcc_lo, exec_lo
	s_or_b32 s59, s59, s60
	s_mov_b32 s61, -1
	s_or_b32 s57, s57, exec_lo
	s_and_saveexec_b32 s60, s59
	s_cbranch_execz .LBB12_739
.LBB12_743:                             ;   in Loop: Header=BB12_740 Depth=2
	s_sleep 1
	s_trap 2
	ds_read_b64 v[2:3], v0
	s_waitcnt lgkmcnt(0)
	buffer_gl0_inv
	s_andn2_b32 s57, s57, exec_lo
	v_cmp_ge_u64_e32 vcc_lo, v[2:3], v[24:25]
	s_orn2_b32 s61, vcc_lo, exec_lo
	s_branch .LBB12_739
.LBB12_744:                             ;   in Loop: Header=BB12_77 Depth=1
	s_inst_prefetch 0x2
	s_or_b32 exec_lo, exec_lo, s47
	s_and_saveexec_b32 s47, s56
	s_xor_b32 s47, exec_lo, s47
	s_cbranch_execz .LBB12_746
; %bb.745:                              ;   in Loop: Header=BB12_77 Depth=1
	ds_write_b32 v0, v66
	s_trap 2
.LBB12_746:                             ;   in Loop: Header=BB12_77 Depth=1
	s_or_b32 exec_lo, exec_lo, s46
	;;#ASMSTART
	s_wakeup
	;;#ASMEND
.LBB12_747:                             ;   in Loop: Header=BB12_77 Depth=1
	s_or_b32 exec_lo, exec_lo, s45
.LBB12_748:                             ;   in Loop: Header=BB12_77 Depth=1
	s_andn2_saveexec_b32 s19, s19
	s_cbranch_execz .LBB12_750
; %bb.749:                              ;   in Loop: Header=BB12_77 Depth=1
	s_waitcnt vmcnt(0) lgkmcnt(0)
	s_waitcnt_vscnt null, 0x0
	buffer_gl1_inv
	buffer_gl0_inv
	s_barrier
.LBB12_750:                             ;   in Loop: Header=BB12_77 Depth=1
	s_or_b32 exec_lo, exec_lo, s19
.LBB12_751:                             ;   in Loop: Header=BB12_77 Depth=1
	s_or_b32 exec_lo, exec_lo, s18
	s_trap 2
	ds_read_b64 v[2:3], v0
	s_waitcnt lgkmcnt(0)
	v_cmp_eq_u64_e32 vcc_lo, 0, v[2:3]
	s_cbranch_vccnz .LBB12_785
; %bb.752:                              ;   in Loop: Header=BB12_77 Depth=1
	s_trap 2
	ds_read_b64 v[10:11], v0
	s_waitcnt lgkmcnt(0)
	v_cmp_eq_u64_e32 vcc_lo, 0, v[10:11]
	s_cbranch_vccnz .LBB12_785
; %bb.753:                              ;   in Loop: Header=BB12_77 Depth=1
	s_mov_b32 s18, -1
	s_and_saveexec_b32 s19, s16
	s_cbranch_execz .LBB12_755
; %bb.754:                              ;   in Loop: Header=BB12_77 Depth=1
	ds_read_b32 v13, v0 offset:720
	s_waitcnt lgkmcnt(0)
	v_and_b32_e32 v13, 15, v13
	v_cmp_eq_u32_e32 vcc_lo, 0, v13
	s_orn2_b32 s18, vcc_lo, exec_lo
.LBB12_755:                             ;   in Loop: Header=BB12_77 Depth=1
	s_or_b32 exec_lo, exec_lo, s19
	s_and_saveexec_b32 s19, s13
	s_cbranch_execz .LBB12_757
; %bb.756:                              ;   in Loop: Header=BB12_77 Depth=1
	ds_read_b32 v13, v0 offset:784
	s_waitcnt lgkmcnt(0)
	v_and_b32_e32 v13, 15, v13
	v_cmp_eq_u32_e32 vcc_lo, 0, v13
	s_and_b32 s45, s18, vcc_lo
	s_andn2_b32 s18, s18, exec_lo
	s_and_b32 s45, s45, exec_lo
	s_or_b32 s18, s18, s45
.LBB12_757:                             ;   in Loop: Header=BB12_77 Depth=1
	s_or_b32 exec_lo, exec_lo, s19
	v_cmp_eq_u32_e32 vcc_lo, 0, v12
	s_xor_b32 s18, s18, -1
	v_mov_b32_e32 v12, 0
	v_cndmask_b32_e64 v13, 0, 1, s18
	v_mov_b32_e32 v37, v0
	v_cndmask_b32_e32 v48, 0, v36, vcc_lo
	v_mov_b32_e32 v112, v82
	s_mov_b32 s18, -1
	v_cmp_ne_u32_e32 vcc_lo, 0, v13
	v_mov_b32_e32 v13, v48
	s_cbranch_vccnz .LBB12_771
; %bb.758:                              ;   in Loop: Header=BB12_77 Depth=1
	v_ashrrev_i32_e32 v12, 31, v48
	s_mov_b32 s19, exec_lo
	v_lshrrev_b32_e32 v12, 20, v12
	v_add_nc_u32_e32 v12, v48, v12
	v_ashrrev_i32_e32 v50, 12, v12
	v_sub_nc_u32_e32 v49, v50, v82
	v_cmpx_lt_i32_e32 0, v49
	s_cbranch_execz .LBB12_762
; %bb.759:                              ;   in Loop: Header=BB12_77 Depth=1
	v_mov_b32_e32 v13, v11
	v_mov_b32_e32 v38, v3
	;; [unrolled: 1-line block ×4, first 2 shown]
	s_mov_b32 s45, 0
.LBB12_760:                             ;   Parent Loop BB12_77 Depth=1
                                        ; =>  This Inner Loop Header: Depth=2
	v_add_co_u32 v44, vcc_lo, v99, v37
	v_add_co_ci_u32_e64 v45, null, v101, v38, vcc_lo
	v_sub_nc_u32_e32 v49, v49, v55
	v_add_co_u32 v76, vcc_lo, 0x800, v44
	v_add_co_ci_u32_e64 v77, null, 0, v45, vcc_lo
	s_clause 0x3
	global_load_dwordx4 v[112:115], v[44:45], off slc
	global_load_dwordx4 v[116:119], v[44:45], off offset:512 slc
	global_load_dwordx4 v[40:43], v[44:45], off offset:1024 slc
	;; [unrolled: 1-line block ×3, first 2 shown]
	s_clause 0x3
	global_load_dwordx4 v[56:59], v[76:77], off slc
	global_load_dwordx4 v[60:63], v[76:77], off offset:512 slc
	global_load_dwordx4 v[72:75], v[76:77], off offset:1024 slc
	;; [unrolled: 1-line block ×3, first 2 shown]
	v_add_co_u32 v88, vcc_lo, v99, v12
	v_add_co_ci_u32_e64 v89, null, v101, v13, vcc_lo
	v_add_co_u32 v37, vcc_lo, v37, v80
	v_add_co_ci_u32_e64 v38, null, 0, v38, vcc_lo
	v_add_co_u32 v12, vcc_lo, v12, v80
	v_add_co_ci_u32_e64 v13, null, 0, v13, vcc_lo
	v_cmp_gt_i32_e32 vcc_lo, 1, v49
	v_add_co_u32 v90, s18, 0x800, v88
	v_add_co_ci_u32_e64 v91, null, 0, v89, s18
	s_or_b32 s45, vcc_lo, s45
	s_waitcnt vmcnt(7)
	global_store_dwordx4 v[88:89], v[112:115], off glc slc
	s_waitcnt vmcnt(6)
	global_store_dwordx4 v[88:89], v[116:119], off offset:512 glc slc
	s_waitcnt vmcnt(5)
	global_store_dwordx4 v[88:89], v[40:43], off offset:1024 glc slc
	;; [unrolled: 2-line block ×3, first 2 shown]
	s_waitcnt vmcnt(3)
	global_store_dwordx4 v[90:91], v[56:59], off glc slc
	s_waitcnt vmcnt(2)
	global_store_dwordx4 v[90:91], v[60:63], off offset:512 glc slc
	s_waitcnt vmcnt(1)
	global_store_dwordx4 v[90:91], v[72:75], off offset:1024 glc slc
	;; [unrolled: 2-line block ×3, first 2 shown]
	s_andn2_b32 exec_lo, exec_lo, s45
	s_cbranch_execnz .LBB12_760
; %bb.761:                              ;   in Loop: Header=BB12_77 Depth=1
	s_or_b32 exec_lo, exec_lo, s45
.LBB12_762:                             ;   in Loop: Header=BB12_77 Depth=1
	s_or_b32 exec_lo, exec_lo, s19
	v_lshlrev_b32_e32 v38, 12, v50
	v_mov_b32_e32 v12, 0
	s_mov_b32 s18, 0
	s_mov_b32 s45, exec_lo
                                        ; implicit-def: $vgpr13
                                        ; implicit-def: $vgpr37
                                        ; implicit-def: $vgpr112
	v_cmpx_ne_u32_e64 v48, v38
	s_cbranch_execz .LBB12_770
; %bb.763:                              ;   in Loop: Header=BB12_77 Depth=1
	v_lshlrev_b32_e32 v12, 5, v49
	v_sub_nc_u32_e32 v37, v48, v38
	s_mov_b32 s46, exec_lo
	v_sub_nc_u32_e32 v12, v85, v12
	v_ashrrev_i32_e32 v49, 31, v37
	v_ashrrev_i32_e32 v13, 31, v12
	v_lshrrev_b32_e32 v49, 23, v49
	v_lshrrev_b32_e32 v13, 27, v13
	v_add_nc_u32_e32 v103, v37, v49
	v_add_nc_u32_e32 v13, v12, v13
	v_and_b32_e32 v49, 0xfffffe00, v103
	v_ashrrev_i32_e32 v103, 9, v103
	v_and_b32_e32 v50, 0xffffffe0, v13
	v_sub_nc_u32_e32 v51, v37, v49
	v_ashrrev_i32_e32 v112, 5, v13
	v_sub_nc_u32_e32 v50, v12, v50
	v_cmp_lt_i32_e32 vcc_lo, 15, v51
	v_lshlrev_b32_e32 v12, 4, v50
	v_add_co_ci_u32_e64 v103, null, 0, v103, vcc_lo
	v_lshl_add_u32 v13, v112, 9, v12
	v_sub_nc_u32_e32 v103, v103, v112
	v_sub_nc_u32_e32 v12, v37, v13
	v_cmpx_lt_i32_e32 15, v12
	s_cbranch_execz .LBB12_767
; %bb.764:                              ;   in Loop: Header=BB12_77 Depth=1
	v_add_nc_u32_e32 v13, v13, v38
	s_mov_b32 s47, 0
	v_ashrrev_i32_e32 v37, 31, v13
	.p2align	6
.LBB12_765:                             ;   Parent Loop BB12_77 Depth=1
                                        ; =>  This Inner Loop Header: Depth=2
	v_add_co_u32 v112, s18, v2, v13
	v_add_co_ci_u32_e64 v113, null, v3, v37, s18
	v_sub_nc_u32_e32 v12, v12, v69
	v_add_co_u32 v116, s18, v10, v13
	global_load_dwordx4 v[112:115], v[112:113], off slc
	v_add_co_ci_u32_e64 v117, null, v11, v37, s18
	v_cmp_gt_i32_e64 s18, 16, v12
	v_add_co_u32 v13, s19, v13, v97
	v_sub_nc_u32_e32 v103, v103, v55
	v_add_co_ci_u32_e64 v37, null, v37, v98, s19
	s_or_b32 s47, s18, s47
	s_waitcnt vmcnt(0)
	global_store_dwordx4 v[116:117], v[112:115], off glc slc
	s_andn2_b32 exec_lo, exec_lo, s47
	s_cbranch_execnz .LBB12_765
; %bb.766:                              ;   in Loop: Header=BB12_77 Depth=1
	s_or_b32 exec_lo, exec_lo, s47
.LBB12_767:                             ;   in Loop: Header=BB12_77 Depth=1
	s_or_b32 exec_lo, exec_lo, s46
	v_and_b32_e32 v113, 15, v48
	v_mov_b32_e32 v12, 0
	s_mov_b32 s19, 0
	s_mov_b32 s46, exec_lo
                                        ; implicit-def: $vgpr37
                                        ; implicit-def: $vgpr112
	v_cndmask_b32_e32 v13, v51, v113, vcc_lo
	v_cmpx_ne_u32_e32 0, v13
	s_cbranch_execz .LBB12_769
; %bb.768:                              ;   in Loop: Header=BB12_77 Depth=1
	v_cmp_lt_i32_e64 s18, 0, v103
	s_mov_b32 s19, exec_lo
	v_cndmask_b32_e64 v12, 0, v55, s18
	v_sub_nc_u32_e32 v12, v12, v103
	v_lshl_add_u32 v37, v12, 5, v50
	v_sub_nc_u32_e32 v50, v51, v113
	v_ashrrev_i32_e32 v12, 31, v37
	v_cndmask_b32_e32 v50, 0, v50, vcc_lo
	v_lshrrev_b32_e32 v12, 27, v12
	v_add_nc_u32_e32 v51, v37, v12
	v_add3_u32 v12, v49, v38, v50
	v_ashrrev_i32_e32 v112, 5, v51
.LBB12_769:                             ;   in Loop: Header=BB12_77 Depth=1
	s_or_b32 exec_lo, exec_lo, s46
	s_and_b32 s18, s19, exec_lo
.LBB12_770:                             ;   in Loop: Header=BB12_77 Depth=1
	s_or_b32 exec_lo, exec_lo, s45
.LBB12_771:                             ;   in Loop: Header=BB12_77 Depth=1
	s_and_saveexec_b32 s19, s18
	s_cbranch_execz .LBB12_780
; %bb.772:                              ;   in Loop: Header=BB12_77 Depth=1
	v_ashrrev_i32_e32 v38, 31, v13
	v_ashrrev_i32_e32 v49, 31, v37
	s_mov_b32 s18, exec_lo
	v_lshrrev_b32_e32 v38, 22, v38
	v_lshrrev_b32_e32 v49, 27, v49
	v_add_nc_u32_e32 v38, v13, v38
	v_ashrrev_i32_e32 v50, 10, v38
	v_sub_nc_u32_e32 v38, v50, v112
	v_cmpx_lt_i32_e32 0, v38
	s_cbranch_execz .LBB12_776
; %bb.773:                              ;   in Loop: Header=BB12_77 Depth=1
	v_add_nc_u32_e32 v51, v37, v49
	v_lshlrev_b32_e32 v103, 10, v112
	s_mov_b32 s45, 0
	v_and_b32_e32 v51, 0xffffffe0, v51
	v_sub_nc_u32_e32 v51, v37, v51
	v_add3_u32 v51, v12, v51, v103
	v_ashrrev_i32_e32 v103, 31, v51
.LBB12_774:                             ;   Parent Loop BB12_77 Depth=1
                                        ; =>  This Inner Loop Header: Depth=2
	v_add_co_u32 v112, vcc_lo, v51, v2
	v_add_co_ci_u32_e64 v113, null, v103, v3, vcc_lo
	v_sub_nc_u32_e32 v38, v38, v55
	s_clause 0x1f
	flat_load_ubyte v114, v[112:113] slc
	flat_load_ubyte v115, v[112:113] offset:32 slc
	flat_load_ubyte v116, v[112:113] offset:64 slc
	;; [unrolled: 1-line block ×31, first 2 shown]
	v_add_co_u32 v112, vcc_lo, v51, v10
	v_add_co_ci_u32_e64 v113, null, v103, v11, vcc_lo
	v_add_co_u32 v2, vcc_lo, v2, v70
	v_add_co_ci_u32_e64 v3, null, 0, v3, vcc_lo
	;; [unrolled: 2-line block ×3, first 2 shown]
	v_cmp_gt_i32_e32 vcc_lo, 1, v38
	s_waitcnt vmcnt(31) lgkmcnt(31)
	flat_store_byte v[112:113], v114 glc slc
	s_waitcnt vmcnt(30) lgkmcnt(31)
	flat_store_byte v[112:113], v115 offset:32 glc slc
	s_waitcnt vmcnt(29) lgkmcnt(31)
	flat_store_byte v[112:113], v116 offset:64 glc slc
	;; [unrolled: 2-line block ×31, first 2 shown]
	s_or_b32 s45, vcc_lo, s45
	s_andn2_b32 exec_lo, exec_lo, s45
	s_cbranch_execnz .LBB12_774
; %bb.775:                              ;   in Loop: Header=BB12_77 Depth=1
	s_or_b32 exec_lo, exec_lo, s45
.LBB12_776:                             ;   in Loop: Header=BB12_77 Depth=1
	s_or_b32 exec_lo, exec_lo, s18
	v_lshlrev_b32_e32 v2, 10, v50
	v_cmp_ne_u32_e32 vcc_lo, v13, v2
	s_and_b32 exec_lo, exec_lo, vcc_lo
	s_cbranch_execz .LBB12_780
; %bb.777:                              ;   in Loop: Header=BB12_77 Depth=1
	v_add_nc_u32_e32 v3, v37, v49
	v_lshlrev_b32_e32 v10, 5, v38
	v_and_b32_e32 v3, 0xffffffe0, v3
	v_sub_nc_u32_e32 v3, v37, v3
	v_sub_nc_u32_e32 v3, v3, v10
	v_add_nc_u32_e32 v11, v2, v3
	v_sub_nc_u32_e32 v10, v13, v11
	v_cmp_lt_i32_e32 vcc_lo, 0, v10
	s_and_b32 exec_lo, exec_lo, vcc_lo
	s_cbranch_execz .LBB12_780
; %bb.778:                              ;   in Loop: Header=BB12_77 Depth=1
	s_trap 2
	ds_read_b64 v[2:3], v0
	v_add_nc_u32_e32 v11, v11, v12
	s_mov_b32 s45, 0
	v_ashrrev_i32_e32 v12, 31, v11
	.p2align	6
.LBB12_779:                             ;   Parent Loop BB12_77 Depth=1
                                        ; =>  This Inner Loop Header: Depth=2
	s_waitcnt lgkmcnt(0)
	v_add_co_u32 v37, vcc_lo, v2, v11
	v_add_co_ci_u32_e64 v38, null, v3, v12, vcc_lo
	v_sub_nc_u32_e32 v10, v10, v64
	v_add_co_u32 v11, s18, v11, v86
	flat_load_ubyte v13, v[37:38] slc
	v_add_co_ci_u32_e64 v12, null, v12, v87, s18
	v_cmp_gt_i32_e32 vcc_lo, 1, v10
	s_or_b32 s45, vcc_lo, s45
	s_waitcnt vmcnt(0) lgkmcnt(0)
	flat_store_byte v[37:38], v13 glc slc
	s_andn2_b32 exec_lo, exec_lo, s45
	s_cbranch_execnz .LBB12_779
.LBB12_780:                             ;   in Loop: Header=BB12_77 Depth=1
	s_or_b32 exec_lo, exec_lo, s19
	v_cmp_lt_i32_e64 s18, 0, v48
	s_and_saveexec_b32 s19, s7
	s_cbranch_execnz .LBB12_786
.LBB12_781:                             ;   in Loop: Header=BB12_77 Depth=1
	s_or_b32 exec_lo, exec_lo, s19
                                        ; implicit-def: $vgpr2
	s_and_saveexec_b32 s19, s15
	s_xor_b32 s19, exec_lo, s19
	s_cbranch_execz .LBB12_823
.LBB12_782:                             ;   in Loop: Header=BB12_77 Depth=1
	v_and_b32_e32 v2, 16, v52
	v_cmp_ne_u32_e32 vcc_lo, 0, v2
	v_and_b32_e32 v2, 16, v52
	s_and_b32 s45, vcc_lo, s18
	s_and_saveexec_b32 s18, s45
	s_cbranch_execz .LBB12_784
; %bb.783:                              ;   in Loop: Header=BB12_77 Depth=1
	v_mov_b32_e32 v2, 1
	s_waitcnt vmcnt(0) lgkmcnt(0)
	s_waitcnt_vscnt null, 0x0
	buffer_gl1_inv
	buffer_gl0_inv
.LBB12_784:                             ;   in Loop: Header=BB12_77 Depth=1
	s_or_b32 exec_lo, exec_lo, s18
	s_andn2_saveexec_b32 s18, s19
	s_cbranch_execz .LBB12_891
	s_branch .LBB12_824
.LBB12_785:                             ;   in Loop: Header=BB12_77 Depth=1
	s_mov_b32 s18, 0
	s_and_saveexec_b32 s19, s7
	s_cbranch_execz .LBB12_781
.LBB12_786:                             ;   in Loop: Header=BB12_77 Depth=1
	s_and_saveexec_b32 s45, s27
	s_xor_b32 s45, exec_lo, s45
	s_cbranch_execz .LBB12_820
; %bb.787:                              ;   in Loop: Header=BB12_77 Depth=1
	s_and_saveexec_b32 s46, s12
	s_cbranch_execz .LBB12_819
; %bb.788:                              ;   in Loop: Header=BB12_77 Depth=1
	s_mov_b32 s56, exec_lo
	s_mov_b32 s47, exec_lo
	v_mbcnt_lo_u32_b32 v2, s56, 0
	s_waitcnt vmcnt(0) lgkmcnt(0)
	s_waitcnt_vscnt null, 0x0
	buffer_gl1_inv
	buffer_gl0_inv
	v_cmpx_eq_u32_e32 0, v2
	s_cbranch_execz .LBB12_790
; %bb.789:                              ;   in Loop: Header=BB12_77 Depth=1
	s_bcnt1_i32_b32 s56, s56
	v_mov_b32_e32 v3, v1
	v_mov_b32_e32 v2, s56
	ds_add_u64 v0, v[2:3]
	s_trap 2
.LBB12_790:                             ;   in Loop: Header=BB12_77 Depth=1
	s_or_b32 exec_lo, exec_lo, s47
	s_trap 2
	ds_read_b64 v[2:3], v0
	s_waitcnt lgkmcnt(0)
	buffer_gl0_inv
	v_add_co_u32 v24, vcc_lo, v24, v55
	v_add_co_ci_u32_e64 v25, null, 0, v25, vcc_lo
	s_mov_b32 s47, exec_lo
	v_cmpx_lt_u64_e64 v[2:3], v[24:25]
	s_cbranch_execz .LBB12_818
; %bb.791:                              ;   in Loop: Header=BB12_77 Depth=1
	s_mov_b32 s56, 0
	s_mov_b32 s59, 0
                                        ; implicit-def: $sgpr57
                                        ; implicit-def: $sgpr58
	s_inst_prefetch 0x1
	s_branch .LBB12_793
	.p2align	6
.LBB12_792:                             ;   in Loop: Header=BB12_793 Depth=2
	s_or_b32 exec_lo, exec_lo, s61
	s_and_b32 s60, exec_lo, s62
	s_or_b32 s56, s60, s56
	s_andn2_b32 s57, s57, exec_lo
	s_and_b32 s60, s58, exec_lo
	s_or_b32 s57, s57, s60
	s_andn2_b32 exec_lo, exec_lo, s56
	s_cbranch_execz .LBB12_816
.LBB12_793:                             ;   Parent Loop BB12_77 Depth=1
                                        ; =>  This Inner Loop Header: Depth=2
	s_add_i32 s59, s59, 1
	s_cmpk_lg_i32 s59, 0x2710
	s_cselect_b32 s60, -1, 0
	s_and_b32 vcc_lo, exec_lo, s60
	s_cbranch_vccz .LBB12_795
; %bb.794:                              ;   in Loop: Header=BB12_793 Depth=2
	s_mov_b32 s62, -1
	s_or_b32 s58, s58, exec_lo
	s_and_saveexec_b32 s61, s60
	s_cbranch_execz .LBB12_792
	s_branch .LBB12_796
	.p2align	6
.LBB12_795:                             ;   in Loop: Header=BB12_793 Depth=2
	s_trap 2
	ds_read_b64 v[2:3], v0
	s_andn2_b32 s60, s60, exec_lo
	s_mov_b32 s59, 0
	s_waitcnt lgkmcnt(0)
	flat_load_dword v2, v[2:3] glc dlc
	s_waitcnt vmcnt(0) lgkmcnt(0)
	buffer_gl1_inv
	buffer_gl0_inv
	v_cmp_eq_u32_e32 vcc_lo, 0, v2
	s_and_b32 s61, vcc_lo, exec_lo
	s_or_b32 s60, s60, s61
	s_mov_b32 s62, -1
	s_or_b32 s58, s58, exec_lo
	s_and_saveexec_b32 s61, s60
	s_cbranch_execz .LBB12_792
.LBB12_796:                             ;   in Loop: Header=BB12_793 Depth=2
	s_sleep 1
	s_trap 2
	ds_read_b64 v[2:3], v0
	s_waitcnt lgkmcnt(0)
	buffer_gl0_inv
	s_andn2_b32 s58, s58, exec_lo
	v_cmp_ge_u64_e32 vcc_lo, v[2:3], v[24:25]
	s_orn2_b32 s62, vcc_lo, exec_lo
	s_branch .LBB12_792
.LBB12_797:                             ;   in Loop: Header=BB12_77 Depth=1
	s_inst_prefetch 0x2
	s_or_b32 exec_lo, exec_lo, s47
	s_and_saveexec_b32 s47, s56
	s_xor_b32 s47, exec_lo, s47
	s_cbranch_execz .LBB12_799
; %bb.798:                              ;   in Loop: Header=BB12_77 Depth=1
	ds_write_b32 v0, v66
	s_trap 2
.LBB12_799:                             ;   in Loop: Header=BB12_77 Depth=1
	s_or_b32 exec_lo, exec_lo, s46
	;;#ASMSTART
	s_wakeup
	;;#ASMEND
.LBB12_800:                             ;   in Loop: Header=BB12_77 Depth=1
	s_or_b32 exec_lo, exec_lo, s45
.LBB12_801:                             ;   in Loop: Header=BB12_77 Depth=1
	s_andn2_saveexec_b32 s43, s43
	s_cbranch_execz .LBB12_803
; %bb.802:                              ;   in Loop: Header=BB12_77 Depth=1
	s_waitcnt vmcnt(0) lgkmcnt(0)
	s_waitcnt_vscnt null, 0x0
	buffer_gl1_inv
	buffer_gl0_inv
	s_barrier
.LBB12_803:                             ;   in Loop: Header=BB12_77 Depth=1
	s_or_b32 exec_lo, exec_lo, s43
	s_or_b32 exec_lo, exec_lo, s20
	s_and_saveexec_b32 s20, s15
	s_xor_b32 s20, exec_lo, s20
	s_cbranch_execnz .LBB12_729
.LBB12_804:                             ;   in Loop: Header=BB12_77 Depth=1
	s_andn2_saveexec_b32 s19, s20
	s_cbranch_execz .LBB12_842
.LBB12_805:                             ;   in Loop: Header=BB12_77 Depth=1
	s_and_saveexec_b32 s20, s27
	s_xor_b32 s20, exec_lo, s20
	s_cbranch_execz .LBB12_839
; %bb.806:                              ;   in Loop: Header=BB12_77 Depth=1
	s_and_saveexec_b32 s43, s12
	s_cbranch_execz .LBB12_838
; %bb.807:                              ;   in Loop: Header=BB12_77 Depth=1
	s_mov_b32 s46, exec_lo
	s_mov_b32 s45, exec_lo
	v_mbcnt_lo_u32_b32 v2, s46, 0
	;;#ASMSTART
	s_waitcnt lgkmcnt(0) vmcnt(0)
	;;#ASMEND
	v_cmpx_eq_u32_e32 0, v2
	s_cbranch_execz .LBB12_809
; %bb.808:                              ;   in Loop: Header=BB12_77 Depth=1
	s_bcnt1_i32_b32 s46, s46
	v_mov_b32_e32 v3, v1
	v_mov_b32_e32 v2, s46
	s_waitcnt vmcnt(0) lgkmcnt(0)
	s_waitcnt_vscnt null, 0x0
	ds_add_u64 v0, v[2:3]
	s_trap 2
.LBB12_809:                             ;   in Loop: Header=BB12_77 Depth=1
	s_or_b32 exec_lo, exec_lo, s45
	s_trap 2
	ds_read_b64 v[2:3], v0
	s_waitcnt vmcnt(0) lgkmcnt(0)
	buffer_gl0_inv
	v_add_co_u32 v24, vcc_lo, v24, v55
	v_add_co_ci_u32_e64 v25, null, 0, v25, vcc_lo
	s_mov_b32 s45, exec_lo
	v_cmpx_lt_u64_e64 v[2:3], v[24:25]
	s_cbranch_execz .LBB12_837
; %bb.810:                              ;   in Loop: Header=BB12_77 Depth=1
	s_mov_b32 s46, 0
	s_mov_b32 s57, 0
                                        ; implicit-def: $sgpr47
                                        ; implicit-def: $sgpr56
	s_inst_prefetch 0x1
	s_branch .LBB12_812
	.p2align	6
.LBB12_811:                             ;   in Loop: Header=BB12_812 Depth=2
	s_or_b32 exec_lo, exec_lo, s59
	s_and_b32 s58, exec_lo, s60
	s_or_b32 s46, s58, s46
	s_andn2_b32 s47, s47, exec_lo
	s_and_b32 s58, s56, exec_lo
	s_or_b32 s47, s47, s58
	s_andn2_b32 exec_lo, exec_lo, s46
	s_cbranch_execz .LBB12_835
.LBB12_812:                             ;   Parent Loop BB12_77 Depth=1
                                        ; =>  This Inner Loop Header: Depth=2
	s_add_i32 s57, s57, 1
	s_cmpk_lg_i32 s57, 0x2710
	s_cselect_b32 s58, -1, 0
	s_and_b32 vcc_lo, exec_lo, s58
	s_cbranch_vccz .LBB12_814
; %bb.813:                              ;   in Loop: Header=BB12_812 Depth=2
	s_mov_b32 s60, -1
	s_or_b32 s56, s56, exec_lo
	s_and_saveexec_b32 s59, s58
	s_cbranch_execz .LBB12_811
	s_branch .LBB12_815
	.p2align	6
.LBB12_814:                             ;   in Loop: Header=BB12_812 Depth=2
	s_trap 2
	ds_read_b64 v[2:3], v0
	s_andn2_b32 s58, s58, exec_lo
	s_mov_b32 s57, 0
	s_waitcnt lgkmcnt(0)
	s_waitcnt_vscnt null, 0x0
	flat_load_dword v2, v[2:3] glc dlc
	s_waitcnt vmcnt(0) lgkmcnt(0)
	buffer_gl1_inv
	buffer_gl0_inv
	v_cmp_eq_u32_e32 vcc_lo, 0, v2
	s_and_b32 s59, vcc_lo, exec_lo
	s_or_b32 s58, s58, s59
	s_mov_b32 s60, -1
	s_or_b32 s56, s56, exec_lo
	s_and_saveexec_b32 s59, s58
	s_cbranch_execz .LBB12_811
.LBB12_815:                             ;   in Loop: Header=BB12_812 Depth=2
	s_sleep 1
	s_trap 2
	ds_read_b64 v[2:3], v0
	s_waitcnt lgkmcnt(0)
	buffer_gl0_inv
	s_andn2_b32 s56, s56, exec_lo
	v_cmp_ge_u64_e32 vcc_lo, v[2:3], v[24:25]
	s_orn2_b32 s60, vcc_lo, exec_lo
	s_branch .LBB12_811
.LBB12_816:                             ;   in Loop: Header=BB12_77 Depth=1
	s_inst_prefetch 0x2
	s_or_b32 exec_lo, exec_lo, s56
	s_and_saveexec_b32 s56, s57
	s_xor_b32 s56, exec_lo, s56
	s_cbranch_execz .LBB12_818
; %bb.817:                              ;   in Loop: Header=BB12_77 Depth=1
	ds_write_b32 v0, v66
	s_trap 2
.LBB12_818:                             ;   in Loop: Header=BB12_77 Depth=1
	s_or_b32 exec_lo, exec_lo, s47
	;;#ASMSTART
	s_wakeup
	;;#ASMEND
.LBB12_819:                             ;   in Loop: Header=BB12_77 Depth=1
	s_or_b32 exec_lo, exec_lo, s46
.LBB12_820:                             ;   in Loop: Header=BB12_77 Depth=1
	s_andn2_saveexec_b32 s45, s45
	s_cbranch_execz .LBB12_822
; %bb.821:                              ;   in Loop: Header=BB12_77 Depth=1
	s_waitcnt vmcnt(0) lgkmcnt(0)
	s_waitcnt_vscnt null, 0x0
	buffer_gl1_inv
	buffer_gl0_inv
	s_barrier
.LBB12_822:                             ;   in Loop: Header=BB12_77 Depth=1
	s_or_b32 exec_lo, exec_lo, s45
	s_or_b32 exec_lo, exec_lo, s19
                                        ; implicit-def: $vgpr2
	s_and_saveexec_b32 s19, s15
	s_xor_b32 s19, exec_lo, s19
	s_cbranch_execnz .LBB12_782
.LBB12_823:                             ;   in Loop: Header=BB12_77 Depth=1
	s_andn2_saveexec_b32 s18, s19
	s_cbranch_execz .LBB12_891
.LBB12_824:                             ;   in Loop: Header=BB12_77 Depth=1
	s_and_saveexec_b32 s19, s27
	s_xor_b32 s19, exec_lo, s19
	s_cbranch_execz .LBB12_888
; %bb.825:                              ;   in Loop: Header=BB12_77 Depth=1
	s_and_saveexec_b32 s45, s12
	s_cbranch_execz .LBB12_887
; %bb.826:                              ;   in Loop: Header=BB12_77 Depth=1
	s_mov_b32 s47, exec_lo
	s_mov_b32 s46, exec_lo
	v_mbcnt_lo_u32_b32 v2, s47, 0
	;;#ASMSTART
	s_waitcnt lgkmcnt(0) vmcnt(0)
	;;#ASMEND
	v_cmpx_eq_u32_e32 0, v2
	s_cbranch_execz .LBB12_828
; %bb.827:                              ;   in Loop: Header=BB12_77 Depth=1
	s_bcnt1_i32_b32 s47, s47
	v_mov_b32_e32 v3, v1
	v_mov_b32_e32 v2, s47
	s_waitcnt vmcnt(0) lgkmcnt(0)
	s_waitcnt_vscnt null, 0x0
	ds_add_u64 v0, v[2:3]
	s_trap 2
.LBB12_828:                             ;   in Loop: Header=BB12_77 Depth=1
	s_or_b32 exec_lo, exec_lo, s46
	s_trap 2
	ds_read_b64 v[2:3], v0
	s_waitcnt vmcnt(0) lgkmcnt(0)
	buffer_gl0_inv
	v_add_co_u32 v24, vcc_lo, v24, v55
	v_add_co_ci_u32_e64 v25, null, 0, v25, vcc_lo
	s_mov_b32 s46, exec_lo
	v_cmpx_lt_u64_e64 v[2:3], v[24:25]
	s_cbranch_execz .LBB12_886
; %bb.829:                              ;   in Loop: Header=BB12_77 Depth=1
	s_mov_b32 s47, 0
	s_mov_b32 s58, 0
                                        ; implicit-def: $sgpr56
                                        ; implicit-def: $sgpr57
	s_inst_prefetch 0x1
	s_branch .LBB12_831
	.p2align	6
.LBB12_830:                             ;   in Loop: Header=BB12_831 Depth=2
	s_or_b32 exec_lo, exec_lo, s60
	s_and_b32 s59, exec_lo, s61
	s_or_b32 s47, s59, s47
	s_andn2_b32 s56, s56, exec_lo
	s_and_b32 s59, s57, exec_lo
	s_or_b32 s56, s56, s59
	s_andn2_b32 exec_lo, exec_lo, s47
	s_cbranch_execz .LBB12_884
.LBB12_831:                             ;   Parent Loop BB12_77 Depth=1
                                        ; =>  This Inner Loop Header: Depth=2
	s_add_i32 s58, s58, 1
	s_cmpk_lg_i32 s58, 0x2710
	s_cselect_b32 s59, -1, 0
	s_and_b32 vcc_lo, exec_lo, s59
	s_cbranch_vccz .LBB12_833
; %bb.832:                              ;   in Loop: Header=BB12_831 Depth=2
	s_mov_b32 s61, -1
	s_or_b32 s57, s57, exec_lo
	s_and_saveexec_b32 s60, s59
	s_cbranch_execz .LBB12_830
	s_branch .LBB12_834
	.p2align	6
.LBB12_833:                             ;   in Loop: Header=BB12_831 Depth=2
	s_trap 2
	ds_read_b64 v[2:3], v0
	s_andn2_b32 s59, s59, exec_lo
	s_mov_b32 s58, 0
	s_waitcnt lgkmcnt(0)
	s_waitcnt_vscnt null, 0x0
	flat_load_dword v2, v[2:3] glc dlc
	s_waitcnt vmcnt(0) lgkmcnt(0)
	buffer_gl1_inv
	buffer_gl0_inv
	v_cmp_eq_u32_e32 vcc_lo, 0, v2
	s_and_b32 s60, vcc_lo, exec_lo
	s_or_b32 s59, s59, s60
	s_mov_b32 s61, -1
	s_or_b32 s57, s57, exec_lo
	s_and_saveexec_b32 s60, s59
	s_cbranch_execz .LBB12_830
.LBB12_834:                             ;   in Loop: Header=BB12_831 Depth=2
	s_sleep 1
	s_trap 2
	ds_read_b64 v[2:3], v0
	s_waitcnt lgkmcnt(0)
	buffer_gl0_inv
	s_andn2_b32 s57, s57, exec_lo
	v_cmp_ge_u64_e32 vcc_lo, v[2:3], v[24:25]
	s_orn2_b32 s61, vcc_lo, exec_lo
	s_branch .LBB12_830
.LBB12_835:                             ;   in Loop: Header=BB12_77 Depth=1
	s_inst_prefetch 0x2
	s_or_b32 exec_lo, exec_lo, s46
	s_and_saveexec_b32 s46, s47
	s_xor_b32 s46, exec_lo, s46
	s_cbranch_execz .LBB12_837
; %bb.836:                              ;   in Loop: Header=BB12_77 Depth=1
	ds_write_b32 v0, v66
	s_trap 2
.LBB12_837:                             ;   in Loop: Header=BB12_77 Depth=1
	s_or_b32 exec_lo, exec_lo, s45
	;;#ASMSTART
	s_wakeup
	;;#ASMEND
.LBB12_838:                             ;   in Loop: Header=BB12_77 Depth=1
	s_or_b32 exec_lo, exec_lo, s43
.LBB12_839:                             ;   in Loop: Header=BB12_77 Depth=1
	s_andn2_saveexec_b32 s20, s20
	s_cbranch_execz .LBB12_841
; %bb.840:                              ;   in Loop: Header=BB12_77 Depth=1
	;;#ASMSTART
	s_waitcnt lgkmcnt(0) vmcnt(0)
	;;#ASMEND
	s_barrier
.LBB12_841:                             ;   in Loop: Header=BB12_77 Depth=1
	s_or_b32 exec_lo, exec_lo, s20
.LBB12_842:                             ;   in Loop: Header=BB12_77 Depth=1
	s_or_b32 exec_lo, exec_lo, s19
	v_and_b32_e32 v2, 32, v52
	s_mov_b32 s19, exec_lo
	v_cmpx_ne_u32_e32 0, v2
	s_cbranch_execz .LBB12_844
; %bb.843:                              ;   in Loop: Header=BB12_77 Depth=1
	v_add_co_u32 v8, vcc_lo, v8, 1
	v_add_co_ci_u32_e64 v9, null, 0, v9, vcc_lo
	s_waitcnt vmcnt(0) lgkmcnt(0)
	s_waitcnt_vscnt null, 0x0
	flat_store_dwordx2 v[20:21], v[8:9]
.LBB12_844:                             ;   in Loop: Header=BB12_77 Depth=1
	s_or_b32 exec_lo, exec_lo, s19
	v_mov_b32_e32 v12, v36
.LBB12_845:                             ;   in Loop: Header=BB12_77 Depth=1
	s_or_b32 exec_lo, exec_lo, s23
	s_mov_b32 s19, s21
	s_and_saveexec_b32 s20, s17
	s_cbranch_execz .LBB12_995
; %bb.846:                              ;   in Loop: Header=BB12_77 Depth=1
	v_and_b32_e32 v2, 4, v52
	s_mov_b32 s23, exec_lo
	v_cmpx_ne_u32_e32 0, v2
	s_cbranch_execz .LBB12_856
; %bb.847:                              ;   in Loop: Header=BB12_77 Depth=1
	v_add_co_u32 v2, vcc_lo, v8, 1
	v_add_co_ci_u32_e64 v3, null, 0, v9, vcc_lo
	s_mov_b32 s43, exec_lo
	s_waitcnt vmcnt(0) lgkmcnt(1)
	v_cmpx_lt_u64_e64 v[28:29], v[2:3]
	s_cbranch_execz .LBB12_871
; %bb.848:                              ;   in Loop: Header=BB12_77 Depth=1
	v_and_b32_e32 v9, 64, v52
	s_mov_b32 s45, 0
	s_mov_b32 s57, 0
                                        ; implicit-def: $sgpr46
                                        ; implicit-def: $sgpr47
                                        ; implicit-def: $sgpr56
	v_cmp_eq_u32_e32 vcc_lo, 0, v9
	s_branch .LBB12_852
.LBB12_849:                             ;   in Loop: Header=BB12_852 Depth=2
	s_waitcnt vmcnt(0) lgkmcnt(0)
	v_cmp_ge_u64_e64 s19, v[28:29], v[2:3]
	s_or_b32 s60, s60, exec_lo
	s_orn2_b32 s59, s19, exec_lo
.LBB12_850:                             ;   in Loop: Header=BB12_852 Depth=2
	s_or_b32 exec_lo, exec_lo, s62
	s_andn2_b32 s19, s56, exec_lo
	s_and_b32 s56, s60, exec_lo
	s_andn2_b32 s47, s47, exec_lo
	s_and_b32 s59, s59, exec_lo
	s_or_b32 s56, s19, s56
	s_or_b32 s47, s47, s59
.LBB12_851:                             ;   in Loop: Header=BB12_852 Depth=2
	s_or_b32 exec_lo, exec_lo, s58
	s_and_b32 s19, exec_lo, s47
	s_or_b32 s45, s19, s45
	s_andn2_b32 s19, s46, exec_lo
	s_and_b32 s46, s56, exec_lo
	s_or_b32 s46, s19, s46
	s_andn2_b32 exec_lo, exec_lo, s45
	s_cbranch_execz .LBB12_868
.LBB12_852:                             ;   Parent Loop BB12_77 Depth=1
                                        ; =>  This Inner Loop Header: Depth=2
	s_sleep 1
	s_waitcnt vmcnt(0) lgkmcnt(0)
	flat_load_dwordx2 v[28:29], v[20:21] glc dlc
	s_or_b32 s56, s56, exec_lo
	s_or_b32 s47, s47, exec_lo
                                        ; implicit-def: $vgpr9
	s_and_saveexec_b32 s58, vcc_lo
	s_cbranch_execz .LBB12_851
; %bb.853:                              ;   in Loop: Header=BB12_852 Depth=2
	s_cmpk_lt_i32 s57, 0x270f
	s_mov_b32 s59, -1
	s_cselect_b32 s61, -1, 0
	s_cmpk_gt_i32 s57, 0x270e
	s_cbranch_scc0 .LBB12_855
; %bb.854:                              ;   in Loop: Header=BB12_852 Depth=2
	s_trap 2
	ds_read_b64 v[9:10], v0
	s_andn2_b32 s57, s61, exec_lo
	s_mov_b32 s60, 0
	s_waitcnt vmcnt(0) lgkmcnt(0)
	s_waitcnt_vscnt null, 0x0
	flat_load_dword v9, v[9:10] glc dlc
	s_waitcnt vmcnt(0) lgkmcnt(0)
	buffer_gl1_inv
	buffer_gl0_inv
	v_cmp_eq_u32_e64 s19, 0, v9
	s_and_b32 s19, s19, exec_lo
	s_or_b32 s61, s57, s19
	s_mov_b32 s57, 0
	s_and_saveexec_b32 s62, s61
	s_cbranch_execz .LBB12_850
	s_branch .LBB12_849
.LBB12_855:                             ;   in Loop: Header=BB12_852 Depth=2
	s_add_i32 s57, s57, 1
	s_mov_b32 s60, -1
                                        ; implicit-def: $vgpr9
	s_and_saveexec_b32 s62, s61
	s_cbranch_execz .LBB12_850
	s_branch .LBB12_849
.LBB12_856:                             ;   in Loop: Header=BB12_77 Depth=1
	s_or_b32 exec_lo, exec_lo, s23
	s_and_saveexec_b32 s19, s7
	s_cbranch_execz .LBB12_880
.LBB12_857:                             ;   in Loop: Header=BB12_77 Depth=1
	s_and_saveexec_b32 s23, s27
	s_xor_b32 s23, exec_lo, s23
	s_cbranch_execz .LBB12_947
; %bb.858:                              ;   in Loop: Header=BB12_77 Depth=1
	s_and_saveexec_b32 s43, s12
	s_cbranch_execz .LBB12_946
; %bb.859:                              ;   in Loop: Header=BB12_77 Depth=1
	s_mov_b32 s46, exec_lo
	s_mov_b32 s45, exec_lo
	v_mbcnt_lo_u32_b32 v2, s46, 0
	s_waitcnt vmcnt(0) lgkmcnt(0)
	s_waitcnt_vscnt null, 0x0
	buffer_gl1_inv
	buffer_gl0_inv
	v_cmpx_eq_u32_e32 0, v2
	s_cbranch_execz .LBB12_861
; %bb.860:                              ;   in Loop: Header=BB12_77 Depth=1
	s_bcnt1_i32_b32 s46, s46
	v_mov_b32_e32 v3, v1
	v_mov_b32_e32 v2, s46
	ds_add_u64 v0, v[2:3]
	s_trap 2
.LBB12_861:                             ;   in Loop: Header=BB12_77 Depth=1
	s_or_b32 exec_lo, exec_lo, s45
	s_trap 2
	ds_read_b64 v[2:3], v0
	s_waitcnt lgkmcnt(0)
	buffer_gl0_inv
	v_add_co_u32 v24, vcc_lo, v24, v55
	v_add_co_ci_u32_e64 v25, null, 0, v25, vcc_lo
	s_mov_b32 s45, exec_lo
	v_cmpx_lt_u64_e64 v[2:3], v[24:25]
	s_cbranch_execz .LBB12_945
; %bb.862:                              ;   in Loop: Header=BB12_77 Depth=1
	s_mov_b32 s46, 0
	s_mov_b32 s57, 0
                                        ; implicit-def: $sgpr47
                                        ; implicit-def: $sgpr56
	s_inst_prefetch 0x1
	s_branch .LBB12_864
	.p2align	6
.LBB12_863:                             ;   in Loop: Header=BB12_864 Depth=2
	s_or_b32 exec_lo, exec_lo, s59
	s_and_b32 s58, exec_lo, s60
	s_or_b32 s46, s58, s46
	s_andn2_b32 s47, s47, exec_lo
	s_and_b32 s58, s56, exec_lo
	s_or_b32 s47, s47, s58
	s_andn2_b32 exec_lo, exec_lo, s46
	s_cbranch_execz .LBB12_943
.LBB12_864:                             ;   Parent Loop BB12_77 Depth=1
                                        ; =>  This Inner Loop Header: Depth=2
	s_add_i32 s57, s57, 1
	s_cmpk_lg_i32 s57, 0x2710
	s_cselect_b32 s58, -1, 0
	s_and_b32 vcc_lo, exec_lo, s58
	s_cbranch_vccz .LBB12_866
; %bb.865:                              ;   in Loop: Header=BB12_864 Depth=2
	s_mov_b32 s60, -1
	s_or_b32 s56, s56, exec_lo
	s_and_saveexec_b32 s59, s58
	s_cbranch_execz .LBB12_863
	s_branch .LBB12_867
	.p2align	6
.LBB12_866:                             ;   in Loop: Header=BB12_864 Depth=2
	s_trap 2
	ds_read_b64 v[2:3], v0
	s_andn2_b32 s58, s58, exec_lo
	s_mov_b32 s57, 0
	s_waitcnt lgkmcnt(0)
	flat_load_dword v2, v[2:3] glc dlc
	s_waitcnt vmcnt(0) lgkmcnt(0)
	buffer_gl1_inv
	buffer_gl0_inv
	v_cmp_eq_u32_e32 vcc_lo, 0, v2
	s_and_b32 s59, vcc_lo, exec_lo
	s_or_b32 s58, s58, s59
	s_mov_b32 s60, -1
	s_or_b32 s56, s56, exec_lo
	s_and_saveexec_b32 s59, s58
	s_cbranch_execz .LBB12_863
.LBB12_867:                             ;   in Loop: Header=BB12_864 Depth=2
	s_sleep 1
	s_trap 2
	ds_read_b64 v[2:3], v0
	s_waitcnt lgkmcnt(0)
	buffer_gl0_inv
	s_andn2_b32 s56, s56, exec_lo
	v_cmp_ge_u64_e32 vcc_lo, v[2:3], v[24:25]
	s_orn2_b32 s60, vcc_lo, exec_lo
	s_branch .LBB12_863
.LBB12_868:                             ;   in Loop: Header=BB12_77 Depth=1
	s_or_b32 exec_lo, exec_lo, s45
	s_xor_b32 s19, s46, -1
	s_and_saveexec_b32 s45, s19
	s_xor_b32 s19, exec_lo, s45
	s_cbranch_execz .LBB12_870
; %bb.869:                              ;   in Loop: Header=BB12_77 Depth=1
	v_or_b32_e32 v52, 64, v52
	s_waitcnt vmcnt(0) lgkmcnt(0)
	s_waitcnt_vscnt null, 0x0
	ds_write_b32 v0, v9
	s_trap 2
.LBB12_870:                             ;   in Loop: Header=BB12_77 Depth=1
	s_or_b32 exec_lo, exec_lo, s19
.LBB12_871:                             ;   in Loop: Header=BB12_77 Depth=1
	s_or_b32 exec_lo, exec_lo, s43
	v_and_b32_e32 v9, 0x100, v52
	v_and_b32_e32 v13, 7, v8
	s_mov_b32 s19, -1
	;;#ASMSTART
	s_wakeup
	;;#ASMEND
	v_cmp_ne_u32_e32 vcc_lo, 0, v9
                                        ; implicit-def: $vgpr8_vgpr9
	s_and_saveexec_b32 s43, vcc_lo
	s_cbranch_execz .LBB12_875
; %bb.872:                              ;   in Loop: Header=BB12_77 Depth=1
	v_mad_u64_u32 v[10:11], null, v13, 24, v[6:7]
	flat_load_dword v8, v[10:11]
	s_waitcnt vmcnt(0) lgkmcnt(0)
	v_cmp_eq_u32_e64 s19, 1, v8
	v_cmp_ne_u32_e32 vcc_lo, 1, v8
                                        ; implicit-def: $vgpr8_vgpr9
	s_and_saveexec_b32 s45, s19
	s_cbranch_execz .LBB12_874
; %bb.873:                              ;   in Loop: Header=BB12_77 Depth=1
	flat_load_dword v8, v[10:11] offset:4 glc dlc
	s_waitcnt vmcnt(0) lgkmcnt(0)
	v_ashrrev_i32_e32 v9, 31, v8
.LBB12_874:                             ;   in Loop: Header=BB12_77 Depth=1
	s_or_b32 exec_lo, exec_lo, s45
	s_orn2_b32 s19, vcc_lo, exec_lo
.LBB12_875:                             ;   in Loop: Header=BB12_77 Depth=1
	s_or_b32 exec_lo, exec_lo, s43
	s_and_saveexec_b32 s43, s19
; %bb.876:                              ;   in Loop: Header=BB12_77 Depth=1
	v_mad_i64_i32 v[8:9], null, v13, v53, 0
; %bb.877:                              ;   in Loop: Header=BB12_77 Depth=1
	s_or_b32 exec_lo, exec_lo, s43
	v_add_co_u32 v8, vcc_lo, v22, v8
	v_and_b32_e32 v10, 0x2000, v52
	v_add_co_ci_u32_e64 v9, null, v23, v9, vcc_lo
	s_mov_b32 s19, exec_lo
	ds_write_b64 v0, v[8:9] offset:720
	v_cmpx_ne_u32_e32 0, v10
	s_cbranch_execz .LBB12_879
; %bb.878:                              ;   in Loop: Header=BB12_77 Depth=1
	ds_read_b64 v[8:9], v0 offset:872
	s_waitcnt lgkmcnt(0)
	v_add_co_u32 v8, vcc_lo, v8, 1
	v_add_co_ci_u32_e64 v9, null, 0, v9, vcc_lo
	ds_write_b64 v0, v[8:9] offset:872
.LBB12_879:                             ;   in Loop: Header=BB12_77 Depth=1
	s_or_b32 exec_lo, exec_lo, s19
	v_mov_b32_e32 v9, v3
	v_mov_b32_e32 v8, v2
	s_or_b32 exec_lo, exec_lo, s23
	s_and_saveexec_b32 s19, s7
	s_cbranch_execnz .LBB12_857
.LBB12_880:                             ;   in Loop: Header=BB12_77 Depth=1
	s_or_b32 exec_lo, exec_lo, s19
	s_and_saveexec_b32 s19, s15
	s_xor_b32 s23, exec_lo, s19
	s_cbranch_execz .LBB12_950
.LBB12_881:                             ;   in Loop: Header=BB12_77 Depth=1
	s_trap 2
	ds_read_b32 v2, v0
	v_sub_nc_u32_e32 v3, v102, v12
	v_min_i32_e32 v3, v36, v3
	v_cmp_lt_i32_e32 vcc_lo, 0, v3
	s_waitcnt lgkmcnt(0)
	v_readfirstlane_b32 s19, v2
	v_and_b32_e32 v2, 16, v52
	s_cmp_eq_u32 s19, 0
	v_cmp_ne_u32_e64 s19, 0, v2
	s_cselect_b32 s43, -1, 0
	s_and_b32 s43, vcc_lo, s43
	s_and_b32 s43, s19, s43
	s_and_saveexec_b32 s19, s43
	s_cbranch_execz .LBB12_883
; %bb.882:                              ;   in Loop: Header=BB12_77 Depth=1
	s_waitcnt vmcnt(0)
	s_waitcnt_vscnt null, 0x0
	buffer_gl1_inv
	buffer_gl0_inv
.LBB12_883:                             ;   in Loop: Header=BB12_77 Depth=1
	s_or_b32 exec_lo, exec_lo, s19
	s_andn2_saveexec_b32 s19, s23
	s_cbranch_execz .LBB12_994
	s_branch .LBB12_951
.LBB12_884:                             ;   in Loop: Header=BB12_77 Depth=1
	s_inst_prefetch 0x2
	s_or_b32 exec_lo, exec_lo, s47
	s_and_saveexec_b32 s47, s56
	s_xor_b32 s47, exec_lo, s47
	s_cbranch_execz .LBB12_886
; %bb.885:                              ;   in Loop: Header=BB12_77 Depth=1
	ds_write_b32 v0, v66
	s_trap 2
.LBB12_886:                             ;   in Loop: Header=BB12_77 Depth=1
	s_or_b32 exec_lo, exec_lo, s46
	;;#ASMSTART
	s_wakeup
	;;#ASMEND
.LBB12_887:                             ;   in Loop: Header=BB12_77 Depth=1
	s_or_b32 exec_lo, exec_lo, s45
.LBB12_888:                             ;   in Loop: Header=BB12_77 Depth=1
	s_andn2_saveexec_b32 s19, s19
	s_cbranch_execz .LBB12_890
; %bb.889:                              ;   in Loop: Header=BB12_77 Depth=1
	;;#ASMSTART
	s_waitcnt lgkmcnt(0) vmcnt(0)
	;;#ASMEND
	s_barrier
.LBB12_890:                             ;   in Loop: Header=BB12_77 Depth=1
	s_or_b32 exec_lo, exec_lo, s19
	v_and_b32_e32 v2, 16, v52
.LBB12_891:                             ;   in Loop: Header=BB12_77 Depth=1
	s_or_b32 exec_lo, exec_lo, s18
	s_mov_b32 s18, exec_lo
	v_cmpx_ne_u32_e32 0, v2
	s_cbranch_execz .LBB12_895
; %bb.892:                              ;   in Loop: Header=BB12_77 Depth=1
	s_and_saveexec_b32 s19, s11
	s_cbranch_execz .LBB12_894
; %bb.893:                              ;   in Loop: Header=BB12_77 Depth=1
	s_waitcnt vmcnt(0) lgkmcnt(0)
	s_waitcnt_vscnt null, 0x0
	flat_store_dword v[26:27], v66
.LBB12_894:                             ;   in Loop: Header=BB12_77 Depth=1
	s_or_b32 exec_lo, exec_lo, s19
	v_add_co_u32 v8, vcc_lo, v8, 1
	v_add_co_ci_u32_e64 v9, null, 0, v9, vcc_lo
	s_waitcnt vmcnt(0) lgkmcnt(0)
	s_waitcnt_vscnt null, 0x0
	flat_store_dwordx2 v[20:21], v[8:9]
.LBB12_895:                             ;   in Loop: Header=BB12_77 Depth=1
	s_or_b32 exec_lo, exec_lo, s18
	v_mov_b32_e32 v10, v36
.LBB12_896:                             ;   in Loop: Header=BB12_77 Depth=1
	s_or_b32 exec_lo, exec_lo, s23
	s_mov_b32 s19, s21
	s_mov_b32 s23, s20
	s_and_saveexec_b32 s18, s17
	s_cbranch_execz .LBB12_983
; %bb.897:                              ;   in Loop: Header=BB12_77 Depth=1
	v_sub_nc_u32_e32 v2, v102, v10
	v_and_b32_e32 v3, 8, v52
	s_mov_b32 s19, exec_lo
	v_min_i32_e32 v2, v36, v2
	v_cmpx_ne_u32_e32 0, v3
	s_cbranch_execz .LBB12_907
; %bb.898:                              ;   in Loop: Header=BB12_77 Depth=1
	s_waitcnt vmcnt(0) lgkmcnt(1)
	v_add_co_u32 v12, vcc_lo, v28, 8
	v_add_co_ci_u32_e64 v13, null, 0, v29, vcc_lo
	v_add_co_u32 v10, vcc_lo, v8, 1
	v_add_co_ci_u32_e64 v11, null, 0, v9, vcc_lo
	s_mov_b32 s23, exec_lo
	v_cmpx_lt_u64_e64 v[12:13], v[10:11]
	s_cbranch_execz .LBB12_923
; %bb.899:                              ;   in Loop: Header=BB12_77 Depth=1
	v_and_b32_e32 v3, 64, v52
	s_mov_b32 s45, 0
	s_mov_b32 s57, 0
                                        ; implicit-def: $sgpr46
                                        ; implicit-def: $sgpr47
                                        ; implicit-def: $sgpr56
	v_cmp_eq_u32_e32 vcc_lo, 0, v3
	s_branch .LBB12_903
.LBB12_900:                             ;   in Loop: Header=BB12_903 Depth=2
	s_waitcnt vmcnt(0) lgkmcnt(0)
	v_add_co_u32 v12, s17, v28, 8
	v_add_co_ci_u32_e64 v13, null, 0, v29, s17
	s_or_b32 s60, s60, exec_lo
	v_cmp_ge_u64_e64 s17, v[12:13], v[10:11]
	s_orn2_b32 s59, s17, exec_lo
.LBB12_901:                             ;   in Loop: Header=BB12_903 Depth=2
	s_or_b32 exec_lo, exec_lo, s62
	s_andn2_b32 s17, s56, exec_lo
	s_and_b32 s56, s60, exec_lo
	s_andn2_b32 s47, s47, exec_lo
	s_and_b32 s59, s59, exec_lo
	s_or_b32 s56, s17, s56
	s_or_b32 s47, s47, s59
.LBB12_902:                             ;   in Loop: Header=BB12_903 Depth=2
	s_or_b32 exec_lo, exec_lo, s58
	s_and_b32 s17, exec_lo, s47
	s_or_b32 s45, s17, s45
	s_andn2_b32 s17, s46, exec_lo
	s_and_b32 s46, s56, exec_lo
	s_or_b32 s46, s17, s46
	s_andn2_b32 exec_lo, exec_lo, s45
	s_cbranch_execz .LBB12_920
.LBB12_903:                             ;   Parent Loop BB12_77 Depth=1
                                        ; =>  This Inner Loop Header: Depth=2
	s_sleep 1
	s_waitcnt vmcnt(0) lgkmcnt(0)
	flat_load_dwordx2 v[28:29], v[20:21] glc dlc
	s_or_b32 s56, s56, exec_lo
	s_or_b32 s47, s47, exec_lo
                                        ; implicit-def: $vgpr3
	s_and_saveexec_b32 s58, vcc_lo
	s_cbranch_execz .LBB12_902
; %bb.904:                              ;   in Loop: Header=BB12_903 Depth=2
	s_cmpk_lt_i32 s57, 0x270f
	s_mov_b32 s59, -1
	s_cselect_b32 s61, -1, 0
	s_cmpk_gt_i32 s57, 0x270e
	s_cbranch_scc0 .LBB12_906
; %bb.905:                              ;   in Loop: Header=BB12_903 Depth=2
	s_trap 2
	ds_read_b64 v[12:13], v0
	s_andn2_b32 s57, s61, exec_lo
	s_mov_b32 s60, 0
	s_waitcnt vmcnt(0) lgkmcnt(0)
	s_waitcnt_vscnt null, 0x0
	flat_load_dword v3, v[12:13] glc dlc
	s_waitcnt vmcnt(0) lgkmcnt(0)
	buffer_gl1_inv
	buffer_gl0_inv
	v_cmp_eq_u32_e64 s17, 0, v3
	s_and_b32 s17, s17, exec_lo
	s_or_b32 s61, s57, s17
	s_mov_b32 s57, 0
	s_and_saveexec_b32 s62, s61
	s_cbranch_execz .LBB12_901
	s_branch .LBB12_900
.LBB12_906:                             ;   in Loop: Header=BB12_903 Depth=2
	s_add_i32 s57, s57, 1
	s_mov_b32 s60, -1
                                        ; implicit-def: $vgpr3
	s_and_saveexec_b32 s62, s61
	s_cbranch_execz .LBB12_901
	s_branch .LBB12_900
.LBB12_907:                             ;   in Loop: Header=BB12_77 Depth=1
	s_or_b32 exec_lo, exec_lo, s19
	s_and_saveexec_b32 s17, s7
	s_cbranch_execnz .LBB12_932
.LBB12_908:                             ;   in Loop: Header=BB12_77 Depth=1
	s_or_b32 exec_lo, exec_lo, s17
                                        ; implicit-def: $vgpr3
	s_and_saveexec_b32 s17, s41
	s_xor_b32 s17, exec_lo, s17
	s_cbranch_execz .LBB12_976
.LBB12_909:                             ;   in Loop: Header=BB12_77 Depth=1
	s_and_saveexec_b32 s19, s27
	s_xor_b32 s19, exec_lo, s19
	s_cbranch_execz .LBB12_966
; %bb.910:                              ;   in Loop: Header=BB12_77 Depth=1
	s_and_saveexec_b32 s23, s12
	s_cbranch_execz .LBB12_965
; %bb.911:                              ;   in Loop: Header=BB12_77 Depth=1
	s_mov_b32 s46, exec_lo
	s_mov_b32 s45, exec_lo
	v_mbcnt_lo_u32_b32 v2, s46, 0
	;;#ASMSTART
	s_waitcnt lgkmcnt(0) vmcnt(0)
	;;#ASMEND
	v_cmpx_eq_u32_e32 0, v2
	s_cbranch_execz .LBB12_913
; %bb.912:                              ;   in Loop: Header=BB12_77 Depth=1
	s_bcnt1_i32_b32 s46, s46
	v_mov_b32_e32 v3, v1
	v_mov_b32_e32 v2, s46
	s_waitcnt vmcnt(0) lgkmcnt(0)
	s_waitcnt_vscnt null, 0x0
	ds_add_u64 v0, v[2:3]
	s_trap 2
.LBB12_913:                             ;   in Loop: Header=BB12_77 Depth=1
	s_or_b32 exec_lo, exec_lo, s45
	s_trap 2
	ds_read_b64 v[2:3], v0
	s_waitcnt vmcnt(0) lgkmcnt(0)
	buffer_gl0_inv
	v_add_co_u32 v24, vcc_lo, v24, v55
	v_add_co_ci_u32_e64 v25, null, 0, v25, vcc_lo
	s_mov_b32 s45, exec_lo
	v_cmpx_lt_u64_e64 v[2:3], v[24:25]
	s_cbranch_execz .LBB12_964
; %bb.914:                              ;   in Loop: Header=BB12_77 Depth=1
	s_mov_b32 s46, 0
	s_mov_b32 s57, 0
                                        ; implicit-def: $sgpr47
                                        ; implicit-def: $sgpr56
	s_inst_prefetch 0x1
	s_branch .LBB12_916
	.p2align	6
.LBB12_915:                             ;   in Loop: Header=BB12_916 Depth=2
	s_or_b32 exec_lo, exec_lo, s59
	s_and_b32 s58, exec_lo, s60
	s_or_b32 s46, s58, s46
	s_andn2_b32 s47, s47, exec_lo
	s_and_b32 s58, s56, exec_lo
	s_or_b32 s47, s47, s58
	s_andn2_b32 exec_lo, exec_lo, s46
	s_cbranch_execz .LBB12_962
.LBB12_916:                             ;   Parent Loop BB12_77 Depth=1
                                        ; =>  This Inner Loop Header: Depth=2
	s_add_i32 s57, s57, 1
	s_cmpk_lg_i32 s57, 0x2710
	s_cselect_b32 s58, -1, 0
	s_and_b32 vcc_lo, exec_lo, s58
	s_cbranch_vccz .LBB12_918
; %bb.917:                              ;   in Loop: Header=BB12_916 Depth=2
	s_mov_b32 s60, -1
	s_or_b32 s56, s56, exec_lo
	s_and_saveexec_b32 s59, s58
	s_cbranch_execz .LBB12_915
	s_branch .LBB12_919
	.p2align	6
.LBB12_918:                             ;   in Loop: Header=BB12_916 Depth=2
	s_trap 2
	ds_read_b64 v[2:3], v0
	s_andn2_b32 s58, s58, exec_lo
	s_mov_b32 s57, 0
	s_waitcnt lgkmcnt(0)
	s_waitcnt_vscnt null, 0x0
	flat_load_dword v2, v[2:3] glc dlc
	s_waitcnt vmcnt(0) lgkmcnt(0)
	buffer_gl1_inv
	buffer_gl0_inv
	v_cmp_eq_u32_e32 vcc_lo, 0, v2
	s_and_b32 s59, vcc_lo, exec_lo
	s_or_b32 s58, s58, s59
	s_mov_b32 s60, -1
	s_or_b32 s56, s56, exec_lo
	s_and_saveexec_b32 s59, s58
	s_cbranch_execz .LBB12_915
.LBB12_919:                             ;   in Loop: Header=BB12_916 Depth=2
	s_sleep 1
	s_trap 2
	ds_read_b64 v[2:3], v0
	s_waitcnt lgkmcnt(0)
	buffer_gl0_inv
	s_andn2_b32 s56, s56, exec_lo
	v_cmp_ge_u64_e32 vcc_lo, v[2:3], v[24:25]
	s_orn2_b32 s60, vcc_lo, exec_lo
	s_branch .LBB12_915
.LBB12_920:                             ;   in Loop: Header=BB12_77 Depth=1
	s_or_b32 exec_lo, exec_lo, s45
	s_xor_b32 s17, s46, -1
	s_and_saveexec_b32 s45, s17
	s_xor_b32 s17, exec_lo, s45
	s_cbranch_execz .LBB12_922
; %bb.921:                              ;   in Loop: Header=BB12_77 Depth=1
	v_or_b32_e32 v52, 64, v52
	s_waitcnt vmcnt(0) lgkmcnt(0)
	s_waitcnt_vscnt null, 0x0
	ds_write_b32 v0, v3
	s_trap 2
.LBB12_922:                             ;   in Loop: Header=BB12_77 Depth=1
	s_or_b32 exec_lo, exec_lo, s17
.LBB12_923:                             ;   in Loop: Header=BB12_77 Depth=1
	s_or_b32 exec_lo, exec_lo, s23
	v_and_b32_e32 v3, 0x100, v52
	v_and_b32_e32 v36, 7, v8
	s_mov_b32 s17, -1
	s_mov_b32 s23, exec_lo
	;;#ASMSTART
	s_wakeup
	;;#ASMEND
                                        ; implicit-def: $vgpr8_vgpr9
	v_cmpx_ne_u32_e32 0, v3
	s_cbranch_execz .LBB12_927
; %bb.924:                              ;   in Loop: Header=BB12_77 Depth=1
	v_mad_u64_u32 v[12:13], null, v36, 24, v[6:7]
	v_ashrrev_i32_e32 v3, 31, v2
	flat_load_dword v8, v[12:13]
	flat_store_dwordx2 v[12:13], v[2:3] offset:8
	s_waitcnt vmcnt(0) lgkmcnt(1)
	v_cmp_eq_u32_e64 s17, 1, v8
	v_cmp_ne_u32_e32 vcc_lo, 1, v8
                                        ; implicit-def: $vgpr8_vgpr9
	s_and_saveexec_b32 s45, s17
	s_cbranch_execz .LBB12_926
; %bb.925:                              ;   in Loop: Header=BB12_77 Depth=1
	flat_load_dword v8, v[12:13] offset:4 glc dlc
	s_waitcnt vmcnt(0) lgkmcnt(0)
	v_ashrrev_i32_e32 v9, 31, v8
.LBB12_926:                             ;   in Loop: Header=BB12_77 Depth=1
	s_or_b32 exec_lo, exec_lo, s45
	s_orn2_b32 s17, vcc_lo, exec_lo
.LBB12_927:                             ;   in Loop: Header=BB12_77 Depth=1
	s_or_b32 exec_lo, exec_lo, s23
	s_and_saveexec_b32 s23, s17
; %bb.928:                              ;   in Loop: Header=BB12_77 Depth=1
	v_mad_i64_i32 v[8:9], null, v36, v53, 0
; %bb.929:                              ;   in Loop: Header=BB12_77 Depth=1
	s_or_b32 exec_lo, exec_lo, s23
	v_add_co_u32 v8, vcc_lo, v22, v8
	v_and_b32_e32 v3, 0x2000, v52
	v_add_co_ci_u32_e64 v9, null, v23, v9, vcc_lo
	s_mov_b32 s17, exec_lo
	ds_write_b64 v0, v[8:9] offset:784
	v_cmpx_ne_u32_e32 0, v3
	s_cbranch_execz .LBB12_931
; %bb.930:                              ;   in Loop: Header=BB12_77 Depth=1
	ds_read_b64 v[8:9], v0 offset:872
	s_waitcnt lgkmcnt(0)
	v_add_co_u32 v8, vcc_lo, v8, 1
	v_add_co_ci_u32_e64 v9, null, 0, v9, vcc_lo
	ds_write_b64 v0, v[8:9] offset:872
.LBB12_931:                             ;   in Loop: Header=BB12_77 Depth=1
	s_or_b32 exec_lo, exec_lo, s17
	v_mov_b32_e32 v8, v10
	v_mov_b32_e32 v9, v11
	s_or_b32 exec_lo, exec_lo, s19
	s_and_saveexec_b32 s17, s7
	s_cbranch_execz .LBB12_908
.LBB12_932:                             ;   in Loop: Header=BB12_77 Depth=1
	s_and_saveexec_b32 s19, s27
	s_xor_b32 s19, exec_lo, s19
	s_cbranch_execz .LBB12_973
; %bb.933:                              ;   in Loop: Header=BB12_77 Depth=1
	s_and_saveexec_b32 s23, s12
	s_cbranch_execz .LBB12_972
; %bb.934:                              ;   in Loop: Header=BB12_77 Depth=1
	s_mov_b32 s46, exec_lo
	s_mov_b32 s45, exec_lo
	v_mbcnt_lo_u32_b32 v3, s46, 0
	s_waitcnt vmcnt(0) lgkmcnt(0)
	s_waitcnt_vscnt null, 0x0
	buffer_gl1_inv
	buffer_gl0_inv
	v_cmpx_eq_u32_e32 0, v3
	s_cbranch_execz .LBB12_936
; %bb.935:                              ;   in Loop: Header=BB12_77 Depth=1
	s_bcnt1_i32_b32 s46, s46
	v_mov_b32_e32 v11, v1
	v_mov_b32_e32 v10, s46
	ds_add_u64 v0, v[10:11]
	s_trap 2
.LBB12_936:                             ;   in Loop: Header=BB12_77 Depth=1
	s_or_b32 exec_lo, exec_lo, s45
	s_trap 2
	ds_read_b64 v[10:11], v0
	s_waitcnt lgkmcnt(0)
	buffer_gl0_inv
	v_add_co_u32 v24, vcc_lo, v24, v55
	v_add_co_ci_u32_e64 v25, null, 0, v25, vcc_lo
	s_mov_b32 s45, exec_lo
	v_cmpx_lt_u64_e64 v[10:11], v[24:25]
	s_cbranch_execz .LBB12_971
; %bb.937:                              ;   in Loop: Header=BB12_77 Depth=1
	s_mov_b32 s46, 0
	s_mov_b32 s57, 0
                                        ; implicit-def: $sgpr47
                                        ; implicit-def: $sgpr56
	s_inst_prefetch 0x1
	s_branch .LBB12_939
	.p2align	6
.LBB12_938:                             ;   in Loop: Header=BB12_939 Depth=2
	s_or_b32 exec_lo, exec_lo, s59
	s_and_b32 s58, exec_lo, s60
	s_or_b32 s46, s58, s46
	s_andn2_b32 s47, s47, exec_lo
	s_and_b32 s58, s56, exec_lo
	s_or_b32 s47, s47, s58
	s_andn2_b32 exec_lo, exec_lo, s46
	s_cbranch_execz .LBB12_969
.LBB12_939:                             ;   Parent Loop BB12_77 Depth=1
                                        ; =>  This Inner Loop Header: Depth=2
	s_add_i32 s57, s57, 1
	s_cmpk_lg_i32 s57, 0x2710
	s_cselect_b32 s58, -1, 0
	s_and_b32 vcc_lo, exec_lo, s58
	s_cbranch_vccz .LBB12_941
; %bb.940:                              ;   in Loop: Header=BB12_939 Depth=2
	s_mov_b32 s60, -1
	s_or_b32 s56, s56, exec_lo
	s_and_saveexec_b32 s59, s58
	s_cbranch_execz .LBB12_938
	s_branch .LBB12_942
	.p2align	6
.LBB12_941:                             ;   in Loop: Header=BB12_939 Depth=2
	s_trap 2
	ds_read_b64 v[10:11], v0
	s_andn2_b32 s58, s58, exec_lo
	s_mov_b32 s57, 0
	s_waitcnt lgkmcnt(0)
	flat_load_dword v3, v[10:11] glc dlc
	s_waitcnt vmcnt(0) lgkmcnt(0)
	buffer_gl1_inv
	buffer_gl0_inv
	v_cmp_eq_u32_e32 vcc_lo, 0, v3
	s_and_b32 s59, vcc_lo, exec_lo
	s_or_b32 s58, s58, s59
	s_mov_b32 s60, -1
	s_or_b32 s56, s56, exec_lo
	s_and_saveexec_b32 s59, s58
	s_cbranch_execz .LBB12_938
.LBB12_942:                             ;   in Loop: Header=BB12_939 Depth=2
	s_sleep 1
	s_trap 2
	ds_read_b64 v[10:11], v0
	s_waitcnt lgkmcnt(0)
	buffer_gl0_inv
	s_andn2_b32 s56, s56, exec_lo
	v_cmp_ge_u64_e32 vcc_lo, v[10:11], v[24:25]
	s_orn2_b32 s60, vcc_lo, exec_lo
	s_branch .LBB12_938
.LBB12_943:                             ;   in Loop: Header=BB12_77 Depth=1
	s_inst_prefetch 0x2
	s_or_b32 exec_lo, exec_lo, s46
	s_and_saveexec_b32 s46, s47
	s_xor_b32 s46, exec_lo, s46
	s_cbranch_execz .LBB12_945
; %bb.944:                              ;   in Loop: Header=BB12_77 Depth=1
	ds_write_b32 v0, v66
	s_trap 2
.LBB12_945:                             ;   in Loop: Header=BB12_77 Depth=1
	s_or_b32 exec_lo, exec_lo, s45
	;;#ASMSTART
	s_wakeup
	;;#ASMEND
.LBB12_946:                             ;   in Loop: Header=BB12_77 Depth=1
	s_or_b32 exec_lo, exec_lo, s43
.LBB12_947:                             ;   in Loop: Header=BB12_77 Depth=1
	s_andn2_saveexec_b32 s23, s23
	s_cbranch_execz .LBB12_949
; %bb.948:                              ;   in Loop: Header=BB12_77 Depth=1
	s_waitcnt vmcnt(0) lgkmcnt(0)
	s_waitcnt_vscnt null, 0x0
	buffer_gl1_inv
	buffer_gl0_inv
	s_barrier
.LBB12_949:                             ;   in Loop: Header=BB12_77 Depth=1
	s_or_b32 exec_lo, exec_lo, s23
	s_or_b32 exec_lo, exec_lo, s19
	s_and_saveexec_b32 s19, s15
	s_xor_b32 s23, exec_lo, s19
	s_cbranch_execnz .LBB12_881
.LBB12_950:                             ;   in Loop: Header=BB12_77 Depth=1
	s_andn2_saveexec_b32 s19, s23
	s_cbranch_execz .LBB12_994
.LBB12_951:                             ;   in Loop: Header=BB12_77 Depth=1
	s_and_saveexec_b32 s23, s27
	s_xor_b32 s23, exec_lo, s23
	s_cbranch_execz .LBB12_991
; %bb.952:                              ;   in Loop: Header=BB12_77 Depth=1
	s_and_saveexec_b32 s43, s12
	s_cbranch_execz .LBB12_990
; %bb.953:                              ;   in Loop: Header=BB12_77 Depth=1
	s_mov_b32 s46, exec_lo
	s_mov_b32 s45, exec_lo
	v_mbcnt_lo_u32_b32 v2, s46, 0
	;;#ASMSTART
	s_waitcnt lgkmcnt(0) vmcnt(0)
	;;#ASMEND
	v_cmpx_eq_u32_e32 0, v2
	s_cbranch_execz .LBB12_955
; %bb.954:                              ;   in Loop: Header=BB12_77 Depth=1
	s_bcnt1_i32_b32 s46, s46
	v_mov_b32_e32 v3, v1
	v_mov_b32_e32 v2, s46
	s_waitcnt vmcnt(0) lgkmcnt(0)
	s_waitcnt_vscnt null, 0x0
	ds_add_u64 v0, v[2:3]
	s_trap 2
.LBB12_955:                             ;   in Loop: Header=BB12_77 Depth=1
	s_or_b32 exec_lo, exec_lo, s45
	s_trap 2
	ds_read_b64 v[2:3], v0
	s_waitcnt vmcnt(0) lgkmcnt(0)
	buffer_gl0_inv
	v_add_co_u32 v24, vcc_lo, v24, v55
	v_add_co_ci_u32_e64 v25, null, 0, v25, vcc_lo
	s_mov_b32 s45, exec_lo
	v_cmpx_lt_u64_e64 v[2:3], v[24:25]
	s_cbranch_execz .LBB12_989
; %bb.956:                              ;   in Loop: Header=BB12_77 Depth=1
	s_mov_b32 s46, 0
	s_mov_b32 s57, 0
                                        ; implicit-def: $sgpr47
                                        ; implicit-def: $sgpr56
	s_inst_prefetch 0x1
	s_branch .LBB12_958
	.p2align	6
.LBB12_957:                             ;   in Loop: Header=BB12_958 Depth=2
	s_or_b32 exec_lo, exec_lo, s59
	s_and_b32 s58, exec_lo, s60
	s_or_b32 s46, s58, s46
	s_andn2_b32 s47, s47, exec_lo
	s_and_b32 s58, s56, exec_lo
	s_or_b32 s47, s47, s58
	s_andn2_b32 exec_lo, exec_lo, s46
	s_cbranch_execz .LBB12_987
.LBB12_958:                             ;   Parent Loop BB12_77 Depth=1
                                        ; =>  This Inner Loop Header: Depth=2
	s_add_i32 s57, s57, 1
	s_cmpk_lg_i32 s57, 0x2710
	s_cselect_b32 s58, -1, 0
	s_and_b32 vcc_lo, exec_lo, s58
	s_cbranch_vccz .LBB12_960
; %bb.959:                              ;   in Loop: Header=BB12_958 Depth=2
	s_mov_b32 s60, -1
	s_or_b32 s56, s56, exec_lo
	s_and_saveexec_b32 s59, s58
	s_cbranch_execz .LBB12_957
	s_branch .LBB12_961
	.p2align	6
.LBB12_960:                             ;   in Loop: Header=BB12_958 Depth=2
	s_trap 2
	ds_read_b64 v[2:3], v0
	s_andn2_b32 s58, s58, exec_lo
	s_mov_b32 s57, 0
	s_waitcnt lgkmcnt(0)
	s_waitcnt_vscnt null, 0x0
	flat_load_dword v2, v[2:3] glc dlc
	s_waitcnt vmcnt(0) lgkmcnt(0)
	buffer_gl1_inv
	buffer_gl0_inv
	v_cmp_eq_u32_e32 vcc_lo, 0, v2
	s_and_b32 s59, vcc_lo, exec_lo
	s_or_b32 s58, s58, s59
	s_mov_b32 s60, -1
	s_or_b32 s56, s56, exec_lo
	s_and_saveexec_b32 s59, s58
	s_cbranch_execz .LBB12_957
.LBB12_961:                             ;   in Loop: Header=BB12_958 Depth=2
	s_sleep 1
	s_trap 2
	ds_read_b64 v[2:3], v0
	s_waitcnt lgkmcnt(0)
	buffer_gl0_inv
	s_andn2_b32 s56, s56, exec_lo
	v_cmp_ge_u64_e32 vcc_lo, v[2:3], v[24:25]
	s_orn2_b32 s60, vcc_lo, exec_lo
	s_branch .LBB12_957
.LBB12_962:                             ;   in Loop: Header=BB12_77 Depth=1
	s_inst_prefetch 0x2
	s_or_b32 exec_lo, exec_lo, s46
	s_and_saveexec_b32 s46, s47
	s_xor_b32 s46, exec_lo, s46
	s_cbranch_execz .LBB12_964
; %bb.963:                              ;   in Loop: Header=BB12_77 Depth=1
	ds_write_b32 v0, v66
	s_trap 2
.LBB12_964:                             ;   in Loop: Header=BB12_77 Depth=1
	s_or_b32 exec_lo, exec_lo, s45
	;;#ASMSTART
	s_wakeup
	;;#ASMEND
.LBB12_965:                             ;   in Loop: Header=BB12_77 Depth=1
	s_or_b32 exec_lo, exec_lo, s23
.LBB12_966:                             ;   in Loop: Header=BB12_77 Depth=1
	s_andn2_saveexec_b32 s19, s19
	s_cbranch_execz .LBB12_968
; %bb.967:                              ;   in Loop: Header=BB12_77 Depth=1
	;;#ASMSTART
	s_waitcnt lgkmcnt(0) vmcnt(0)
	;;#ASMEND
	s_barrier
.LBB12_968:                             ;   in Loop: Header=BB12_77 Depth=1
	s_or_b32 exec_lo, exec_lo, s19
	v_and_b32_e32 v3, 16, v52
                                        ; implicit-def: $vgpr2
	s_andn2_saveexec_b32 s19, s17
	s_cbranch_execz .LBB12_980
	s_branch .LBB12_977
.LBB12_969:                             ;   in Loop: Header=BB12_77 Depth=1
	s_inst_prefetch 0x2
	s_or_b32 exec_lo, exec_lo, s46
	s_and_saveexec_b32 s46, s47
	s_xor_b32 s46, exec_lo, s46
	s_cbranch_execz .LBB12_971
; %bb.970:                              ;   in Loop: Header=BB12_77 Depth=1
	ds_write_b32 v0, v66
	s_trap 2
.LBB12_971:                             ;   in Loop: Header=BB12_77 Depth=1
	s_or_b32 exec_lo, exec_lo, s45
	;;#ASMSTART
	s_wakeup
	;;#ASMEND
.LBB12_972:                             ;   in Loop: Header=BB12_77 Depth=1
	s_or_b32 exec_lo, exec_lo, s23
.LBB12_973:                             ;   in Loop: Header=BB12_77 Depth=1
	s_andn2_saveexec_b32 s19, s19
	s_cbranch_execz .LBB12_975
; %bb.974:                              ;   in Loop: Header=BB12_77 Depth=1
	s_waitcnt vmcnt(0) lgkmcnt(0)
	s_waitcnt_vscnt null, 0x0
	buffer_gl1_inv
	buffer_gl0_inv
	s_barrier
.LBB12_975:                             ;   in Loop: Header=BB12_77 Depth=1
	s_or_b32 exec_lo, exec_lo, s19
	s_or_b32 exec_lo, exec_lo, s17
                                        ; implicit-def: $vgpr3
	s_and_saveexec_b32 s17, s41
	s_xor_b32 s17, exec_lo, s17
	s_cbranch_execnz .LBB12_909
.LBB12_976:                             ;   in Loop: Header=BB12_77 Depth=1
	s_andn2_saveexec_b32 s19, s17
	s_cbranch_execz .LBB12_980
.LBB12_977:                             ;   in Loop: Header=BB12_77 Depth=1
	s_trap 2
	ds_read_b32 v3, v0
	v_cmp_lt_i32_e32 vcc_lo, 0, v2
	s_waitcnt lgkmcnt(0)
	v_readfirstlane_b32 s17, v3
	v_and_b32_e32 v3, 16, v52
	s_cmp_eq_u32 s17, 0
	v_cmp_ne_u32_e64 s17, 0, v3
	s_cselect_b32 s23, -1, 0
	v_and_b32_e32 v3, 16, v52
	s_and_b32 s23, vcc_lo, s23
	s_and_b32 s23, s17, s23
	s_and_saveexec_b32 s17, s23
	s_cbranch_execz .LBB12_979
; %bb.978:                              ;   in Loop: Header=BB12_77 Depth=1
	v_mov_b32_e32 v3, 1
	s_waitcnt vmcnt(0)
	s_waitcnt_vscnt null, 0x0
	buffer_gl1_inv
	buffer_gl0_inv
.LBB12_979:                             ;   in Loop: Header=BB12_77 Depth=1
	s_or_b32 exec_lo, exec_lo, s17
.LBB12_980:                             ;   in Loop: Header=BB12_77 Depth=1
	s_or_b32 exec_lo, exec_lo, s19
	s_mov_b32 s17, s21
	s_mov_b32 s23, s20
	s_mov_b32 s19, exec_lo
	v_cmpx_ne_u32_e32 0, v3
; %bb.981:                              ;   in Loop: Header=BB12_77 Depth=1
	s_andn2_b32 s17, s20, exec_lo
	s_and_b32 s23, s10, exec_lo
	s_andn2_b32 s45, s21, exec_lo
	s_and_b32 s46, s11, exec_lo
	s_or_b32 s23, s17, s23
	s_or_b32 s17, s45, s46
; %bb.982:                              ;   in Loop: Header=BB12_77 Depth=1
	s_or_b32 exec_lo, exec_lo, s19
	s_andn2_b32 s19, s20, exec_lo
	s_and_b32 s23, s23, exec_lo
	s_andn2_b32 s45, s21, exec_lo
	s_and_b32 s17, s17, exec_lo
	s_or_b32 s23, s19, s23
	s_or_b32 s19, s45, s17
.LBB12_983:                             ;   in Loop: Header=BB12_77 Depth=1
	s_or_b32 exec_lo, exec_lo, s18
	s_andn2_b32 s17, s20, exec_lo
	s_and_b32 s18, s23, exec_lo
	s_andn2_b32 s21, s21, exec_lo
	s_and_b32 s19, s19, exec_lo
	s_or_b32 s20, s17, s18
	s_or_b32 s21, s21, s19
.LBB12_984:                             ;   in Loop: Header=BB12_77 Depth=1
	s_or_b32 exec_lo, exec_lo, s22
	s_and_saveexec_b32 s17, s21
	s_cbranch_execz .LBB12_986
; %bb.985:                              ;   in Loop: Header=BB12_77 Depth=1
	s_or_b32 s20, s20, exec_lo
	s_waitcnt vmcnt(0) lgkmcnt(0)
	s_waitcnt_vscnt null, 0x0
	flat_store_dword v[26:27], v66
.LBB12_986:                             ;   in Loop: Header=BB12_77 Depth=1
	s_or_b32 exec_lo, exec_lo, s17
	s_andn2_b32 s17, s43, exec_lo
	s_and_b32 s18, s20, exec_lo
	s_or_b32 s43, s17, s18
	s_or_b32 exec_lo, exec_lo, s44
	s_and_saveexec_b32 s17, s43
	s_cbranch_execz .LBB12_76
	s_branch .LBB12_998
.LBB12_987:                             ;   in Loop: Header=BB12_77 Depth=1
	s_inst_prefetch 0x2
	s_or_b32 exec_lo, exec_lo, s46
	s_and_saveexec_b32 s46, s47
	s_xor_b32 s46, exec_lo, s46
	s_cbranch_execz .LBB12_989
; %bb.988:                              ;   in Loop: Header=BB12_77 Depth=1
	ds_write_b32 v0, v66
	s_trap 2
.LBB12_989:                             ;   in Loop: Header=BB12_77 Depth=1
	s_or_b32 exec_lo, exec_lo, s45
	;;#ASMSTART
	s_wakeup
	;;#ASMEND
.LBB12_990:                             ;   in Loop: Header=BB12_77 Depth=1
	s_or_b32 exec_lo, exec_lo, s43
.LBB12_991:                             ;   in Loop: Header=BB12_77 Depth=1
	s_andn2_saveexec_b32 s23, s23
	s_cbranch_execz .LBB12_993
; %bb.992:                              ;   in Loop: Header=BB12_77 Depth=1
	;;#ASMSTART
	s_waitcnt lgkmcnt(0) vmcnt(0)
	;;#ASMEND
	s_barrier
.LBB12_993:                             ;   in Loop: Header=BB12_77 Depth=1
	s_or_b32 exec_lo, exec_lo, s23
.LBB12_994:                             ;   in Loop: Header=BB12_77 Depth=1
	s_or_b32 exec_lo, exec_lo, s19
	v_and_b32_e32 v2, 32, v52
	s_andn2_b32 s19, s21, exec_lo
	v_cmp_ne_u32_e32 vcc_lo, 0, v2
	s_and_b32 s23, vcc_lo, exec_lo
	s_or_b32 s19, s19, s23
.LBB12_995:                             ;   in Loop: Header=BB12_77 Depth=1
	s_or_b32 exec_lo, exec_lo, s20
	s_andn2_b32 s20, s21, exec_lo
	s_and_b32 s19, s19, exec_lo
	s_or_b32 s21, s20, s19
.LBB12_996:                             ;   in Loop: Header=BB12_77 Depth=1
	s_or_b32 exec_lo, exec_lo, s22
	s_and_b32 s43, s21, exec_lo
                                        ; implicit-def: $vgpr36
                                        ; implicit-def: $vgpr102
                                        ; implicit-def: $vgpr2
                                        ; implicit-def: $vgpr3
	s_andn2_saveexec_b32 s44, s44
	s_cbranch_execnz .LBB12_86
.LBB12_997:                             ;   in Loop: Header=BB12_77 Depth=1
	s_or_b32 exec_lo, exec_lo, s44
	s_and_saveexec_b32 s17, s43
	s_cbranch_execz .LBB12_76
.LBB12_998:                             ;   in Loop: Header=BB12_77 Depth=1
	v_add_co_u32 v8, vcc_lo, v8, 1
	v_add_co_ci_u32_e64 v9, null, 0, v9, vcc_lo
	s_waitcnt vmcnt(0) lgkmcnt(0)
	s_waitcnt_vscnt null, 0x0
	flat_store_dwordx2 v[20:21], v[8:9]
	s_branch .LBB12_76
.LBB12_999:
	s_or_b32 exec_lo, exec_lo, s28
.LBB12_1000:
	s_or_b32 exec_lo, exec_lo, s26
	v_and_b32_e32 v0, 0x800, v52
	s_mov_b32 s5, exec_lo
	v_cmpx_eq_u32_e32 0, v0
	s_cbranch_execz .LBB12_1033
; %bb.1001:
	v_and_b32_e32 v0, 48, v52
	s_mov_b32 s4, exec_lo
	v_cmpx_ne_u32_e32 0, v0
	s_cbranch_execz .LBB12_1003
; %bb.1002:
	s_waitcnt vmcnt(0) lgkmcnt(0)
	flat_store_dwordx2 v[18:19], v[8:9] offset:104
.LBB12_1003:
	s_or_b32 exec_lo, exec_lo, s4
	v_and_b32_e32 v0, 0x88, v52
	s_mov_b32 s6, exec_lo
	v_cmpx_eq_u32_e32 0x88, v0
	s_cbranch_execz .LBB12_1013
; %bb.1004:
	s_waitcnt vmcnt(0) lgkmcnt(0)
	v_add_nc_u32_e32 v0, -1, v8
	v_and_b32_e32 v4, 64, v52
	s_mov_b32 s7, 0
	v_and_b32_e32 v0, 7, v0
	v_cmp_eq_u32_e64 s4, 0, v4
	v_mad_u64_u32 v[0:1], null, v0, 24, v[6:7]
	flat_load_dwordx2 v[2:3], v[0:1] offset:8 glc dlc
	s_waitcnt vmcnt(0) lgkmcnt(0)
	v_cmp_ne_u64_e32 vcc_lo, -1, v[2:3]
	s_and_b32 s4, vcc_lo, s4
	s_and_b32 exec_lo, exec_lo, s4
	s_cbranch_execz .LBB12_1013
; %bb.1005:
	s_mov_b32 s11, 0
                                        ; implicit-def: $sgpr4
                                        ; implicit-def: $sgpr10
	s_inst_prefetch 0x1
	s_branch .LBB12_1008
	.p2align	6
.LBB12_1006:                            ;   in Loop: Header=BB12_1008 Depth=1
	flat_load_dwordx2 v[3:4], v[0:1] offset:8 glc dlc
	s_waitcnt vmcnt(0)
	s_andn2_b32 s10, s10, exec_lo
	s_waitcnt lgkmcnt(0)
	v_cmp_eq_u64_e32 vcc_lo, -1, v[3:4]
	s_orn2_b32 s13, vcc_lo, exec_lo
.LBB12_1007:                            ;   in Loop: Header=BB12_1008 Depth=1
	s_or_b32 exec_lo, exec_lo, s14
	s_and_b32 s12, exec_lo, s13
	s_or_b32 s7, s12, s7
	s_andn2_b32 s4, s4, exec_lo
	s_and_b32 s12, s10, exec_lo
	s_or_b32 s4, s4, s12
	s_andn2_b32 exec_lo, exec_lo, s7
	s_cbranch_execz .LBB12_1011
.LBB12_1008:                            ; =>This Inner Loop Header: Depth=1
	s_cmpk_lt_i32 s11, 0x270f
	s_cselect_b32 s12, -1, 0
	s_and_b32 vcc_lo, exec_lo, s12
	s_cbranch_vccnz .LBB12_1010
; %bb.1009:                             ;   in Loop: Header=BB12_1008 Depth=1
	s_trap 2
	ds_read_b64 v[2:3], v0
	s_andn2_b32 s12, s12, exec_lo
	s_mov_b32 s11, 0
	s_waitcnt lgkmcnt(0)
	s_waitcnt_vscnt null, 0x0
	flat_load_dword v2, v[2:3] glc dlc
	s_waitcnt vmcnt(0) lgkmcnt(0)
	buffer_gl1_inv
	buffer_gl0_inv
	v_cmp_eq_u32_e32 vcc_lo, 0, v2
	s_and_b32 s13, vcc_lo, exec_lo
	s_or_b32 s12, s12, s13
	s_mov_b32 s13, -1
	s_or_b32 s10, s10, exec_lo
	s_and_saveexec_b32 s14, s12
	s_cbranch_execz .LBB12_1007
	s_branch .LBB12_1006
	.p2align	6
.LBB12_1010:                            ;   in Loop: Header=BB12_1008 Depth=1
	s_add_i32 s11, s11, 1
                                        ; implicit-def: $vgpr2
	s_mov_b32 s13, -1
	s_or_b32 s10, s10, exec_lo
	s_and_saveexec_b32 s14, s12
	s_cbranch_execz .LBB12_1007
	s_branch .LBB12_1006
.LBB12_1011:
	s_inst_prefetch 0x2
	s_or_b32 exec_lo, exec_lo, s7
	s_and_saveexec_b32 s7, s4
	s_xor_b32 s7, exec_lo, s7
	s_cbranch_execz .LBB12_1013
; %bb.1012:
	s_waitcnt_vscnt null, 0x0
	ds_write_b32 v0, v2
	s_trap 2
.LBB12_1013:
	s_or_b32 exec_lo, exec_lo, s6
	v_and_b32_e32 v0, 0x2000, v52
	s_mov_b32 s4, exec_lo
	v_cmpx_ne_u32_e32 0, v0
	s_cbranch_execz .LBB12_1015
; %bb.1014:
	ds_read_b64 v[0:1], v0 offset:872
	s_waitcnt lgkmcnt(0)
	flat_store_dwordx2 v[16:17], v[0:1] offset:16
.LBB12_1015:
	s_or_b32 exec_lo, exec_lo, s4
	v_cmp_ne_u32_e32 vcc_lo, 32, v30
	s_and_b32 exec_lo, exec_lo, vcc_lo
	s_cbranch_execz .LBB12_1033
; %bb.1016:
	s_waitcnt vmcnt(0)
	v_cmp_ne_u32_sdwa s4, v30, v39 src0_sel:DWORD src1_sel:WORD_0
	s_and_saveexec_b32 s6, s4
	s_xor_b32 s4, exec_lo, s6
	s_cbranch_execz .LBB12_1031
; %bb.1017:
	v_and_b32_e32 v0, 31, v31
	s_mov_b32 s6, exec_lo
	v_cmpx_eq_u32_e32 0, v0
	s_cbranch_execz .LBB12_1030
; %bb.1018:
	s_mov_b32 s10, exec_lo
	s_mov_b32 s7, exec_lo
	v_mbcnt_lo_u32_b32 v0, s10, 0
	s_waitcnt lgkmcnt(0)
	s_waitcnt_vscnt null, 0x0
	buffer_gl1_inv
	buffer_gl0_inv
	v_cmpx_eq_u32_e32 0, v0
	s_cbranch_execz .LBB12_1020
; %bb.1019:
	s_bcnt1_i32_b32 s10, s10
	v_mov_b32_e32 v1, 0
	v_mov_b32_e32 v0, s10
	ds_add_u64 v0, v[0:1]
	s_trap 2
.LBB12_1020:
	s_or_b32 exec_lo, exec_lo, s7
	s_trap 2
	ds_read_b64 v[2:3], v0
	s_waitcnt lgkmcnt(0)
	buffer_gl0_inv
	v_lshrrev_b32_e32 v0, 5, v30
	s_mov_b32 s7, exec_lo
	v_add_co_u32 v0, vcc_lo, v24, v0
	v_add_co_ci_u32_e64 v1, null, 0, v25, vcc_lo
	v_cmpx_lt_u64_e64 v[2:3], v[0:1]
	s_cbranch_execz .LBB12_1029
; %bb.1021:
	s_mov_b32 s10, 0
	s_mov_b32 s13, 0
                                        ; implicit-def: $sgpr11
                                        ; implicit-def: $sgpr12
	s_inst_prefetch 0x1
	s_branch .LBB12_1023
	.p2align	6
.LBB12_1022:                            ;   in Loop: Header=BB12_1023 Depth=1
	s_or_b32 exec_lo, exec_lo, s15
	s_and_b32 s14, exec_lo, s16
	s_or_b32 s10, s14, s10
	s_andn2_b32 s11, s11, exec_lo
	s_and_b32 s14, s12, exec_lo
	s_or_b32 s11, s11, s14
	s_andn2_b32 exec_lo, exec_lo, s10
	s_cbranch_execz .LBB12_1027
.LBB12_1023:                            ; =>This Inner Loop Header: Depth=1
	s_add_i32 s13, s13, 1
	s_cmpk_lg_i32 s13, 0x2710
	s_cselect_b32 s14, -1, 0
	s_and_b32 vcc_lo, exec_lo, s14
	s_cbranch_vccz .LBB12_1025
; %bb.1024:                             ;   in Loop: Header=BB12_1023 Depth=1
	s_mov_b32 s16, -1
	s_or_b32 s12, s12, exec_lo
	s_and_saveexec_b32 s15, s14
	s_cbranch_execz .LBB12_1022
	s_branch .LBB12_1026
.LBB12_1025:                            ;   in Loop: Header=BB12_1023 Depth=1
	s_trap 2
	ds_read_b64 v[2:3], v0
	s_andn2_b32 s14, s14, exec_lo
	s_mov_b32 s13, 0
	s_waitcnt lgkmcnt(0)
	flat_load_dword v2, v[2:3] glc dlc
	s_waitcnt vmcnt(0) lgkmcnt(0)
	buffer_gl1_inv
	buffer_gl0_inv
	v_cmp_eq_u32_e32 vcc_lo, 0, v2
	s_and_b32 s15, vcc_lo, exec_lo
	s_or_b32 s14, s14, s15
	s_mov_b32 s16, -1
	s_or_b32 s12, s12, exec_lo
	s_and_saveexec_b32 s15, s14
	s_cbranch_execz .LBB12_1022
.LBB12_1026:                            ;   in Loop: Header=BB12_1023 Depth=1
	s_sleep 1
	s_trap 2
	ds_read_b64 v[2:3], v0
	s_waitcnt lgkmcnt(0)
	buffer_gl0_inv
	s_andn2_b32 s12, s12, exec_lo
	v_cmp_ge_u64_e32 vcc_lo, v[2:3], v[0:1]
	s_orn2_b32 s16, vcc_lo, exec_lo
	s_branch .LBB12_1022
.LBB12_1027:
	s_inst_prefetch 0x2
	s_or_b32 exec_lo, exec_lo, s10
	s_and_saveexec_b32 s10, s11
	s_xor_b32 s10, exec_lo, s10
	s_cbranch_execz .LBB12_1029
; %bb.1028:
	v_mov_b32_e32 v0, 1
	ds_write_b32 v0, v0
	s_trap 2
.LBB12_1029:
	s_or_b32 exec_lo, exec_lo, s7
	;;#ASMSTART
	s_wakeup
	;;#ASMEND
.LBB12_1030:
	s_or_b32 exec_lo, exec_lo, s6
.LBB12_1031:
	s_andn2_saveexec_b32 s4, s4
	s_cbranch_execz .LBB12_1033
; %bb.1032:
	s_waitcnt lgkmcnt(0)
	s_waitcnt_vscnt null, 0x0
	buffer_gl1_inv
	buffer_gl0_inv
	s_barrier
.LBB12_1033:
	s_or_b32 exec_lo, exec_lo, s5
.LBB12_1034:
	s_andn2_saveexec_b32 s26, s24
	s_cbranch_execz .LBB12_1036
; %bb.1035:
	s_getpc_b64 s[4:5]
	s_add_u32 s4, s4, __PRETTY_FUNCTION__._ZN10PrimitivesIa7FuncSumIaE12FanSymmetricILi1EELi0E11ProtoSimpleILi1ELi1ELi0ELi4ELi0ELi0EELi0ELb0ELi0ELi0ELi0EEC2EiiPKiS8_PKvPvmhhhP15ncclDevWorkCollP14ncclDevWorkP2pii@rel32@lo+4
	s_addc_u32 s5, s5, __PRETTY_FUNCTION__._ZN10PrimitivesIa7FuncSumIaE12FanSymmetricILi1EELi0E11ProtoSimpleILi1ELi1ELi0ELi4ELi0ELi0EELi0ELb0ELi0ELi0ELi0EEC2EiiPKiS8_PKvPvmhhhP15ncclDevWorkCollP14ncclDevWorkP2pii@rel32@hi+12
	v_mov_b32_e32 v0, s4
	v_mov_b32_e32 v1, s5
	s_getpc_b64 s[6:7]
	s_add_u32 s6, s6, __assert_fail@rel32@lo+4
	s_addc_u32 s7, s7, __assert_fail@rel32@hi+12
	s_swappc_b64 s[30:31], s[6:7]
	; divergent unreachable
.LBB12_1036:
	s_or_b32 exec_lo, exec_lo, s26
.LBB12_1037:
	s_or_b32 exec_lo, exec_lo, s25
	s_clause 0x1b
	buffer_load_dword v91, off, s[0:3], s33
	buffer_load_dword v90, off, s[0:3], s33 offset:4
	buffer_load_dword v89, off, s[0:3], s33 offset:8
	;; [unrolled: 1-line block ×27, first 2 shown]
	v_readlane_b32 s30, v92, 0
	v_readlane_b32 s31, v92, 1
	s_mov_b32 s32, s33
	s_or_saveexec_b32 s4, -1
	buffer_load_dword v92, off, s[0:3], s33 offset:112 ; 4-byte Folded Reload
	s_mov_b32 exec_lo, s4
	s_mov_b32 s33, s72
	s_waitcnt vmcnt(0) lgkmcnt(0)
	s_setpc_b64 s[30:31]
.Lfunc_end12:
	.size	_ZN12_GLOBAL__N_17runRingIa7FuncSumIaE11ProtoSimpleILi1ELi1ELi0ELi4ELi0ELi0EELi0ELi4ELi0EEEviiP15ncclDevWorkColl, .Lfunc_end12-_ZN12_GLOBAL__N_17runRingIa7FuncSumIaE11ProtoSimpleILi1ELi1ELi0ELi4ELi0ELi0EELi0ELi4ELi0EEEviiP15ncclDevWorkColl
                                        ; -- End function
	.set .L_ZN12_GLOBAL__N_17runRingIa7FuncSumIaE11ProtoSimpleILi1ELi1ELi0ELi4ELi0ELi0EELi0ELi4ELi0EEEviiP15ncclDevWorkColl.num_vgpr, max(120, .L__assert_fail.num_vgpr)
	.set .L_ZN12_GLOBAL__N_17runRingIa7FuncSumIaE11ProtoSimpleILi1ELi1ELi0ELi4ELi0ELi0EELi0ELi4ELi0EEEviiP15ncclDevWorkColl.num_agpr, max(0, .L__assert_fail.num_agpr)
	.set .L_ZN12_GLOBAL__N_17runRingIa7FuncSumIaE11ProtoSimpleILi1ELi1ELi0ELi4ELi0ELi0EELi0ELi4ELi0EEEviiP15ncclDevWorkColl.numbered_sgpr, max(73, .L__assert_fail.numbered_sgpr)
	.set .L_ZN12_GLOBAL__N_17runRingIa7FuncSumIaE11ProtoSimpleILi1ELi1ELi0ELi4ELi0ELi0EELi0ELi4ELi0EEEviiP15ncclDevWorkColl.num_named_barrier, max(0, .L__assert_fail.num_named_barrier)
	.set .L_ZN12_GLOBAL__N_17runRingIa7FuncSumIaE11ProtoSimpleILi1ELi1ELi0ELi4ELi0ELi0EELi0ELi4ELi0EEEviiP15ncclDevWorkColl.private_seg_size, 128+max(.L__assert_fail.private_seg_size)
	.set .L_ZN12_GLOBAL__N_17runRingIa7FuncSumIaE11ProtoSimpleILi1ELi1ELi0ELi4ELi0ELi0EELi0ELi4ELi0EEEviiP15ncclDevWorkColl.uses_vcc, or(1, .L__assert_fail.uses_vcc)
	.set .L_ZN12_GLOBAL__N_17runRingIa7FuncSumIaE11ProtoSimpleILi1ELi1ELi0ELi4ELi0ELi0EELi0ELi4ELi0EEEviiP15ncclDevWorkColl.uses_flat_scratch, or(1, .L__assert_fail.uses_flat_scratch)
	.set .L_ZN12_GLOBAL__N_17runRingIa7FuncSumIaE11ProtoSimpleILi1ELi1ELi0ELi4ELi0ELi0EELi0ELi4ELi0EEEviiP15ncclDevWorkColl.has_dyn_sized_stack, or(0, .L__assert_fail.has_dyn_sized_stack)
	.set .L_ZN12_GLOBAL__N_17runRingIa7FuncSumIaE11ProtoSimpleILi1ELi1ELi0ELi4ELi0ELi0EELi0ELi4ELi0EEEviiP15ncclDevWorkColl.has_recursion, or(1, .L__assert_fail.has_recursion)
	.set .L_ZN12_GLOBAL__N_17runRingIa7FuncSumIaE11ProtoSimpleILi1ELi1ELi0ELi4ELi0ELi0EELi0ELi4ELi0EEEviiP15ncclDevWorkColl.has_indirect_call, or(0, .L__assert_fail.has_indirect_call)
	.section	.AMDGPU.csdata,"",@progbits
; Function info:
; codeLenInByte = 41924
; TotalNumSgprs: 75
; NumVgprs: 120
; ScratchSize: 192
; MemoryBound: 1
	.text
	.p2align	2                               ; -- Begin function _Z46ncclDevFunc_Broadcast_RING_SIMPLE_Sum_i8_0_0_4v
	.type	_Z46ncclDevFunc_Broadcast_RING_SIMPLE_Sum_i8_0_0_4v,@function
_Z46ncclDevFunc_Broadcast_RING_SIMPLE_Sum_i8_0_0_4v: ; @_Z46ncclDevFunc_Broadcast_RING_SIMPLE_Sum_i8_0_0_4v
; %bb.0:
	s_waitcnt vmcnt(0) expcnt(0) lgkmcnt(0)
	s_mov_b32 s78, s33
	s_mov_b32 s33, s32
	s_or_saveexec_b32 s4, -1
	buffer_store_dword v43, off, s[0:3], s33 offset:16 ; 4-byte Folded Spill
	s_mov_b32 exec_lo, s4
	s_addk_i32 s32, 0x400
	buffer_store_dword v40, off, s[0:3], s33 offset:12 ; 4-byte Folded Spill
	buffer_store_dword v41, off, s[0:3], s33 offset:8 ; 4-byte Folded Spill
	;; [unrolled: 1-line block ×3, first 2 shown]
	buffer_store_dword v92, off, s[0:3], s33 ; 4-byte Folded Spill
	v_writelane_b32 v43, s30, 0
	v_writelane_b32 v43, s31, 1
	s_trap 2
	ds_read_b32 v0, v0
	v_mov_b32_e32 v40, v31
	s_waitcnt lgkmcnt(0)
	v_cmp_gt_i32_e32 vcc_lo, 1, v0
	s_cbranch_vccnz .LBB13_8
; %bb.1:
	v_and_b32_e32 v41, 0x3ff, v40
	v_mov_b32_e32 v42, 5
	s_mov_b32 s73, s12
	s_mov_b64 s[74:75], s[8:9]
	s_mov_b32 s76, 0
	s_inst_prefetch 0x1
	s_branch .LBB13_3
	.p2align	6
.LBB13_2:                               ;   in Loop: Header=BB13_3 Depth=1
	s_or_b32 exec_lo, exec_lo, s77
	s_trap 2
	ds_read_b32 v0, v0
	s_add_i32 s76, s76, 1
	s_waitcnt lgkmcnt(0)
	v_cmp_lt_i32_e32 vcc_lo, s76, v0
	s_cbranch_vccz .LBB13_8
.LBB13_3:                               ; =>This Inner Loop Header: Depth=1
	s_trap 2
	ds_read_b32 v0, v0
	s_cmp_eq_u32 s76, 0
	s_cbranch_scc1 .LBB13_6
; %bb.4:                                ;   in Loop: Header=BB13_3 Depth=1
	s_trap 2
	s_waitcnt lgkmcnt(0)
	ds_read_b32 v1, v0
	s_waitcnt lgkmcnt(0)
	v_xor_b32_e32 v1, v1, v0
	v_and_b32_e32 v1, 0xff0000, v1
	v_cmp_eq_u32_e32 vcc_lo, 0, v1
	s_cbranch_vccnz .LBB13_6
; %bb.5:                                ;   in Loop: Header=BB13_3 Depth=1
	s_waitcnt_vscnt null, 0x0
	s_barrier
	buffer_gl0_inv
	ds_read_b32 v0, v0
.LBB13_6:                               ;   in Loop: Header=BB13_3 Depth=1
	s_waitcnt lgkmcnt(0)
	v_lshlrev_b32_sdwa v1, v42, v0 dst_sel:DWORD dst_unused:UNUSED_PAD src0_sel:DWORD src1_sel:BYTE_2
	s_mov_b32 s77, exec_lo
	v_cmpx_lt_u32_e64 v41, v1
	s_cbranch_execz .LBB13_2
; %bb.7:                                ;   in Loop: Header=BB13_3 Depth=1
	s_mov_b64 s[4:5], src_shared_base
	v_mov_b32_e32 v31, v40
	v_mov_b32_e32 v0, v41
	;; [unrolled: 1-line block ×3, first 2 shown]
	s_getpc_b64 s[6:7]
	s_add_u32 s6, s6, _ZN12_GLOBAL__N_17runRingIa7FuncSumIaE11ProtoSimpleILi1ELi1ELi0ELi4ELi0ELi0EELi0ELi4ELi0EEEviiP15ncclDevWorkColl@rel32@lo+4
	s_addc_u32 s7, s7, _ZN12_GLOBAL__N_17runRingIa7FuncSumIaE11ProtoSimpleILi1ELi1ELi0ELi4ELi0ELi0EELi0ELi4ELi0EEEviiP15ncclDevWorkColl@rel32@hi+12
	s_mov_b64 s[8:9], s[74:75]
	s_mov_b32 s12, s73
	s_swappc_b64 s[30:31], s[6:7]
	s_branch .LBB13_2
.LBB13_8:
	s_inst_prefetch 0x2
	s_clause 0x3
	buffer_load_dword v92, off, s[0:3], s33
	buffer_load_dword v42, off, s[0:3], s33 offset:4
	buffer_load_dword v41, off, s[0:3], s33 offset:8
	;; [unrolled: 1-line block ×3, first 2 shown]
	v_readlane_b32 s30, v43, 0
	v_readlane_b32 s31, v43, 1
	s_mov_b32 s32, s33
	s_or_saveexec_b32 s4, -1
	buffer_load_dword v43, off, s[0:3], s33 offset:16 ; 4-byte Folded Reload
	s_mov_b32 exec_lo, s4
	s_mov_b32 s33, s78
	s_waitcnt vmcnt(0)
	s_setpc_b64 s[30:31]
.Lfunc_end13:
	.size	_Z46ncclDevFunc_Broadcast_RING_SIMPLE_Sum_i8_0_0_4v, .Lfunc_end13-_Z46ncclDevFunc_Broadcast_RING_SIMPLE_Sum_i8_0_0_4v
                                        ; -- End function
	.set .L_Z46ncclDevFunc_Broadcast_RING_SIMPLE_Sum_i8_0_0_4v.num_vgpr, max(93, .L_ZN12_GLOBAL__N_17runRingIa7FuncSumIaE11ProtoSimpleILi1ELi1ELi0ELi4ELi0ELi0EELi0ELi4ELi0EEEviiP15ncclDevWorkColl.num_vgpr)
	.set .L_Z46ncclDevFunc_Broadcast_RING_SIMPLE_Sum_i8_0_0_4v.num_agpr, max(0, .L_ZN12_GLOBAL__N_17runRingIa7FuncSumIaE11ProtoSimpleILi1ELi1ELi0ELi4ELi0ELi0EELi0ELi4ELi0EEEviiP15ncclDevWorkColl.num_agpr)
	.set .L_Z46ncclDevFunc_Broadcast_RING_SIMPLE_Sum_i8_0_0_4v.numbered_sgpr, max(79, .L_ZN12_GLOBAL__N_17runRingIa7FuncSumIaE11ProtoSimpleILi1ELi1ELi0ELi4ELi0ELi0EELi0ELi4ELi0EEEviiP15ncclDevWorkColl.numbered_sgpr)
	.set .L_Z46ncclDevFunc_Broadcast_RING_SIMPLE_Sum_i8_0_0_4v.num_named_barrier, max(0, .L_ZN12_GLOBAL__N_17runRingIa7FuncSumIaE11ProtoSimpleILi1ELi1ELi0ELi4ELi0ELi0EELi0ELi4ELi0EEEviiP15ncclDevWorkColl.num_named_barrier)
	.set .L_Z46ncclDevFunc_Broadcast_RING_SIMPLE_Sum_i8_0_0_4v.private_seg_size, 32+max(.L_ZN12_GLOBAL__N_17runRingIa7FuncSumIaE11ProtoSimpleILi1ELi1ELi0ELi4ELi0ELi0EELi0ELi4ELi0EEEviiP15ncclDevWorkColl.private_seg_size)
	.set .L_Z46ncclDevFunc_Broadcast_RING_SIMPLE_Sum_i8_0_0_4v.uses_vcc, or(1, .L_ZN12_GLOBAL__N_17runRingIa7FuncSumIaE11ProtoSimpleILi1ELi1ELi0ELi4ELi0ELi0EELi0ELi4ELi0EEEviiP15ncclDevWorkColl.uses_vcc)
	.set .L_Z46ncclDevFunc_Broadcast_RING_SIMPLE_Sum_i8_0_0_4v.uses_flat_scratch, or(0, .L_ZN12_GLOBAL__N_17runRingIa7FuncSumIaE11ProtoSimpleILi1ELi1ELi0ELi4ELi0ELi0EELi0ELi4ELi0EEEviiP15ncclDevWorkColl.uses_flat_scratch)
	.set .L_Z46ncclDevFunc_Broadcast_RING_SIMPLE_Sum_i8_0_0_4v.has_dyn_sized_stack, or(0, .L_ZN12_GLOBAL__N_17runRingIa7FuncSumIaE11ProtoSimpleILi1ELi1ELi0ELi4ELi0ELi0EELi0ELi4ELi0EEEviiP15ncclDevWorkColl.has_dyn_sized_stack)
	.set .L_Z46ncclDevFunc_Broadcast_RING_SIMPLE_Sum_i8_0_0_4v.has_recursion, or(1, .L_ZN12_GLOBAL__N_17runRingIa7FuncSumIaE11ProtoSimpleILi1ELi1ELi0ELi4ELi0ELi0EELi0ELi4ELi0EEEviiP15ncclDevWorkColl.has_recursion)
	.set .L_Z46ncclDevFunc_Broadcast_RING_SIMPLE_Sum_i8_0_0_4v.has_indirect_call, or(0, .L_ZN12_GLOBAL__N_17runRingIa7FuncSumIaE11ProtoSimpleILi1ELi1ELi0ELi4ELi0ELi0EELi0ELi4ELi0EEEviiP15ncclDevWorkColl.has_indirect_call)
	.section	.AMDGPU.csdata,"",@progbits
; Function info:
; codeLenInByte = 476
; TotalNumSgprs: 81
; NumVgprs: 120
; ScratchSize: 224
; MemoryBound: 0
	.text
	.p2alignl 6, 3214868480
	.fill 48, 4, 3214868480
	.section	.AMDGPU.gpr_maximums,"",@progbits
	.set amdgpu.max_num_vgpr, 120
	.set amdgpu.max_num_agpr, 0
	.set amdgpu.max_num_sgpr, 79
	.text
	.type	__const.__assert_fail.fmt,@object ; @__const.__assert_fail.fmt
	.section	.rodata.str1.16,"aMS",@progbits,1
	.p2align	4, 0x0
__const.__assert_fail.fmt:
	.asciz	"%s:%u: %s: Device-side assertion `%s' failed.\n"
	.size	__const.__assert_fail.fmt, 47

	.type	.str.4,@object                  ; @.str.4
	.section	.rodata.str1.1,"aMS",@progbits,1
.str.4:
	.asciz	"2*(nrecv+nsend) <= nthreads"
	.size	.str.4, 28

	.type	.str.5,@object                  ; @.str.5
.str.5:
	.asciz	"/root/src/amdgpu-assembly/repos/ROCm__rccl/hipify/src/device/prims_simple.h"
	.size	.str.5, 76

	.type	__PRETTY_FUNCTION__._ZN10PrimitivesIa7FuncSumIaE12FanSymmetricILi1EELi0E11ProtoSimpleILi1ELi1ELi0ELi1ELi0ELi0EELi0ELb0ELi0ELi0ELi0EEC2EiiPKiS8_PKvPvmhhhP15ncclDevWorkCollP14ncclDevWorkP2pii,@object ; @__PRETTY_FUNCTION__._ZN10PrimitivesIa7FuncSumIaE12FanSymmetricILi1EELi0E11ProtoSimpleILi1ELi1ELi0ELi1ELi0ELi0EELi0ELb0ELi0ELi0ELi0EEC2EiiPKiS8_PKvPvmhhhP15ncclDevWorkCollP14ncclDevWorkP2pii
__PRETTY_FUNCTION__._ZN10PrimitivesIa7FuncSumIaE12FanSymmetricILi1EELi0E11ProtoSimpleILi1ELi1ELi0ELi1ELi0ELi0EELi0ELb0ELi0ELi0ELi0EEC2EiiPKiS8_PKvPvmhhhP15ncclDevWorkCollP14ncclDevWorkP2pii:
	.asciz	"Primitives<signed char, FuncSum<signed char>, FanSymmetric<1>, 0, ProtoSimple<1, 1, 0, 1>, 0>::Primitives(int, int, const int *, const int *, const void *, void *, uint64_t, uint8_t, uint8_t, uint8_t, struct ncclDevWorkColl *, struct ncclDevWorkP2p *, int, int) [T = signed char, RedOp = FuncSum<signed char>, Fan = FanSymmetric<1>, Direct = 0, Proto = ProtoSimple<1, 1, 0, 1>, P2p = 0, isNetOffload = false, Metadata = 0, Pipeline = 0, useAcc = 0]"
	.size	__PRETTY_FUNCTION__._ZN10PrimitivesIa7FuncSumIaE12FanSymmetricILi1EELi0E11ProtoSimpleILi1ELi1ELi0ELi1ELi0ELi0EELi0ELb0ELi0ELi0ELi0EEC2EiiPKiS8_PKvPvmhhhP15ncclDevWorkCollP14ncclDevWorkP2pii, 449

	.type	__PRETTY_FUNCTION__._ZN10PrimitivesIa7FuncSumIaE12FanSymmetricILi1EELi0E11ProtoSimpleILi1ELi1ELi0ELi2ELi0ELi0EELi0ELb0ELi0ELi0ELi0EEC2EiiPKiS8_PKvPvmhhhP15ncclDevWorkCollP14ncclDevWorkP2pii,@object ; @__PRETTY_FUNCTION__._ZN10PrimitivesIa7FuncSumIaE12FanSymmetricILi1EELi0E11ProtoSimpleILi1ELi1ELi0ELi2ELi0ELi0EELi0ELb0ELi0ELi0ELi0EEC2EiiPKiS8_PKvPvmhhhP15ncclDevWorkCollP14ncclDevWorkP2pii
__PRETTY_FUNCTION__._ZN10PrimitivesIa7FuncSumIaE12FanSymmetricILi1EELi0E11ProtoSimpleILi1ELi1ELi0ELi2ELi0ELi0EELi0ELb0ELi0ELi0ELi0EEC2EiiPKiS8_PKvPvmhhhP15ncclDevWorkCollP14ncclDevWorkP2pii:
	.asciz	"Primitives<signed char, FuncSum<signed char>, FanSymmetric<1>, 0, ProtoSimple<1, 1, 0, 2>, 0>::Primitives(int, int, const int *, const int *, const void *, void *, uint64_t, uint8_t, uint8_t, uint8_t, struct ncclDevWorkColl *, struct ncclDevWorkP2p *, int, int) [T = signed char, RedOp = FuncSum<signed char>, Fan = FanSymmetric<1>, Direct = 0, Proto = ProtoSimple<1, 1, 0, 2>, P2p = 0, isNetOffload = false, Metadata = 0, Pipeline = 0, useAcc = 0]"
	.size	__PRETTY_FUNCTION__._ZN10PrimitivesIa7FuncSumIaE12FanSymmetricILi1EELi0E11ProtoSimpleILi1ELi1ELi0ELi2ELi0ELi0EELi0ELb0ELi0ELi0ELi0EEC2EiiPKiS8_PKvPvmhhhP15ncclDevWorkCollP14ncclDevWorkP2pii, 449

	.type	__PRETTY_FUNCTION__._ZN10PrimitivesIa7FuncSumIaE12FanSymmetricILi1EELi0E11ProtoSimpleILi1ELi1ELi0ELi4ELi0ELi0EELi0ELb0ELi0ELi0ELi0EEC2EiiPKiS8_PKvPvmhhhP15ncclDevWorkCollP14ncclDevWorkP2pii,@object ; @__PRETTY_FUNCTION__._ZN10PrimitivesIa7FuncSumIaE12FanSymmetricILi1EELi0E11ProtoSimpleILi1ELi1ELi0ELi4ELi0ELi0EELi0ELb0ELi0ELi0ELi0EEC2EiiPKiS8_PKvPvmhhhP15ncclDevWorkCollP14ncclDevWorkP2pii
__PRETTY_FUNCTION__._ZN10PrimitivesIa7FuncSumIaE12FanSymmetricILi1EELi0E11ProtoSimpleILi1ELi1ELi0ELi4ELi0ELi0EELi0ELb0ELi0ELi0ELi0EEC2EiiPKiS8_PKvPvmhhhP15ncclDevWorkCollP14ncclDevWorkP2pii:
	.asciz	"Primitives<signed char, FuncSum<signed char>, FanSymmetric<1>, 0, ProtoSimple<1, 1, 0, 4>, 0>::Primitives(int, int, const int *, const int *, const void *, void *, uint64_t, uint8_t, uint8_t, uint8_t, struct ncclDevWorkColl *, struct ncclDevWorkP2p *, int, int) [T = signed char, RedOp = FuncSum<signed char>, Fan = FanSymmetric<1>, Direct = 0, Proto = ProtoSimple<1, 1, 0, 4>, P2p = 0, isNetOffload = false, Metadata = 0, Pipeline = 0, useAcc = 0]"
	.size	__PRETTY_FUNCTION__._ZN10PrimitivesIa7FuncSumIaE12FanSymmetricILi1EELi0E11ProtoSimpleILi1ELi1ELi0ELi4ELi0ELi0EELi0ELb0ELi0ELi0ELi0EEC2EiiPKiS8_PKvPvmhhhP15ncclDevWorkCollP14ncclDevWorkP2pii, 449

	.type	__hip_cuid_75be6bd1d668da88,@object ; @__hip_cuid_75be6bd1d668da88
	.section	.bss,"aw",@nobits
	.globl	__hip_cuid_75be6bd1d668da88
__hip_cuid_75be6bd1d668da88:
	.byte	0                               ; 0x0
	.size	__hip_cuid_75be6bd1d668da88, 1

	.ident	"AMD clang version 22.0.0git (https://github.com/RadeonOpenCompute/llvm-project roc-7.2.4 26084 f58b06dce1f9c15707c5f808fd002e18c2accf7e)"
	.section	".note.GNU-stack","",@progbits
	.addrsig
	.addrsig_sym _Z42ncclDevFunc_Broadcast_RING_LL_Sum_i8_0_0_1v
	.addrsig_sym _Z46ncclDevFunc_Broadcast_RING_SIMPLE_Sum_i8_0_0_1v
	.addrsig_sym _Z42ncclDevFunc_Broadcast_RING_LL_Sum_i8_0_0_2v
	.addrsig_sym _Z46ncclDevFunc_Broadcast_RING_SIMPLE_Sum_i8_0_0_2v
	.addrsig_sym _Z42ncclDevFunc_Broadcast_RING_LL_Sum_i8_0_0_4v
	.addrsig_sym _Z46ncclDevFunc_Broadcast_RING_SIMPLE_Sum_i8_0_0_4v
	.addrsig_sym ncclShmem
	.addrsig_sym __hip_cuid_75be6bd1d668da88
	.amdgpu_metadata
---
amdhsa.kernels:  []
amdhsa.target:   amdgcn-amd-amdhsa--gfx1030
amdhsa.version:
  - 1
  - 2
...

	.end_amdgpu_metadata
